;; amdgpu-corpus repo=ROCm/aiter kind=harvested arch=n/a opt=n/a

/root/src/amdgpu-assembly/repos/ROCm__aiter/hsa/gfx942/fmha_v3_bwd/bwd_hd128_fp16_causal_br_a32_pssk_group.co:	file format elf64-amdgpu

Disassembly of section .text:

0000000000003e00 <_ZN5aiter44fmha_bwd_hd128_fp16_causal_br_a32_pssk_groupE>:
	s_and_b32 s1, s1, 0xffff                                   // 000000003E00: 8601FF01 0000FFFF
	s_load_dwordx2 s[32:33], s[0:1], 0x0                       // 000000003E08: C0060800 00000000
	s_load_dwordx2 s[36:37], s[0:1], 0x10                      // 000000003E10: C0060900 00000010
	s_load_dwordx2 s[40:41], s[0:1], 0x20                      // 000000003E18: C0060A00 00000020
	s_load_dwordx2 s[8:9], s[0:1], 0x30                        // 000000003E20: C0060200 00000030
	s_load_dwordx2 s[12:13], s[0:1], 0x40                      // 000000003E28: C0060300 00000040
	s_load_dwordx2 s[16:17], s[0:1], 0x50                      // 000000003E30: C0060400 00000050
	s_load_dwordx2 s[20:21], s[0:1], 0x60                      // 000000003E38: C0060500 00000060
	s_load_dwordx2 s[24:25], s[0:1], 0x70                      // 000000003E40: C0060600 00000070
	s_load_dwordx2 s[28:29], s[0:1], 0x80                      // 000000003E48: C0060700 00000080
	s_load_dword s47, s[0:1], 0x90                             // 000000003E50: C0020BC0 00000090
	s_load_dword s48, s[0:1], 0xa0                             // 000000003E58: C0020C00 000000A0
	s_load_dword s78, s[0:1], 0xd0                             // 000000003E60: C0021380 000000D0
	s_load_dword s5, s[0:1], 0xf0                              // 000000003E68: C0020140 000000F0
	s_load_dword s44, s[0:1], 0x100                            // 000000003E70: C0020B00 00000100
	s_load_dword s79, s[0:1], 0x110                            // 000000003E78: C00213C0 00000110
	s_load_dword s6, s[0:1], 0x130                             // 000000003E80: C0020180 00000130
	s_load_dword s52, s[0:1], 0x140                            // 000000003E88: C0020D00 00000140
	s_load_dword s50, s[0:1], 0x160                            // 000000003E90: C0020C80 00000160
	s_load_dword s80, s[0:1], 0x190                            // 000000003E98: C0021400 00000190
	s_load_dword s7, s[0:1], 0x1b0                             // 000000003EA0: C00201C0 000001B0
	s_load_dword s81, s[0:1], 0x1c0                            // 000000003EA8: C0021440 000001C0
	s_load_dword s51, s[0:1], 0x1e0                            // 000000003EB0: C0020CC0 000001E0
	s_load_dword s82, s[0:1], 0x1f0                            // 000000003EB8: C0021480 000001F0
	s_load_dword s83, s[0:1], 0x210                            // 000000003EC0: C00214C0 00000210
	s_load_dword s53, s[0:1], 0x230                            // 000000003EC8: C0020D40 00000230
	s_load_dword s49, s[0:1], 0x240                            // 000000003ED0: C0020C40 00000240
	s_load_dwordx2 s[88:89], s[0:1], 0x250                     // 000000003ED8: C0061600 00000250
	s_load_dwordx2 s[92:93], s[0:1], 0x260                     // 000000003EE0: C0061700 00000260
	s_load_dwordx2 s[96:97], s[0:1], 0x270                     // 000000003EE8: C0061800 00000270
	s_load_dwordx2 s[100:101], s[0:1], 0x280                   // 000000003EF0: C0061900 00000280
	v_lshrrev_b32_e32 v1, 10, v0                               // 000000003EF8: 2002008A
	v_lshrrev_b32_e32 v2, 10, v1                               // 000000003EFC: 2004028A
	v_and_b32_e32 v2, 0x3ff, v2                                // 000000003F00: 260404FF 000003FF
	v_and_b32_e32 v1, 0x3ff, v1                                // 000000003F08: 260202FF 000003FF
	v_and_b32_e32 v0, 0x3ff, v0                                // 000000003F10: 260000FF 000003FF
	v_lshrrev_b32_e32 v3, 6, v0                                // 000000003F18: 20060086
	v_and_b32_e32 v0, 63, v0                                   // 000000003F1C: 260000BF
	s_mov_b32 s2, s2                                           // 000000003F20: BE820002
	s_mov_b32 s3, s3                                           // 000000003F24: BE830003
	s_mov_b32 s4, s4                                           // 000000003F28: BE840004
	v_readfirstlane_b32 s46, v3                                // 000000003F2C: 7E5C0503
	s_waitcnt lgkmcnt(0)                                       // 000000003F30: BF8CC07F
	s_mul_i32 s60, s4, 4                                       // 000000003F34: 923C8404
	s_add_u32 s88, s60, s88                                    // 000000003F38: 8058583C
	s_addc_u32 s89, 0, s89                                     // 000000003F3C: 82595980
	s_load_dwordx2 s[84:85], s[88:89], 0x0                     // 000000003F40: C006152C 00000000
	s_add_u32 s96, s60, s96                                    // 000000003F48: 8060603C
	s_addc_u32 s97, 0, s97                                     // 000000003F4C: 82616180
	s_load_dword s90, s[96:97], 0x0                            // 000000003F50: C00216B0 00000000
	s_add_u32 s92, s60, s92                                    // 000000003F58: 805C5C3C
	s_addc_u32 s93, 0, s93                                     // 000000003F5C: 825D5D80
	s_load_dwordx2 s[86:87], s[92:93], 0x0                     // 000000003F60: C00615AE 00000000
	s_add_u32 s100, s60, s100                                  // 000000003F68: 8064643C
	s_addc_u32 s101, 0, s101                                   // 000000003F6C: 82656580
	s_load_dword s94, s[100:101], 0x0                          // 000000003F70: C00217B2 00000000
	s_mov_b32 s11, 0x20000                                     // 000000003F78: BE8B00FF 00020000
	s_mov_b32 s15, 0x20000                                     // 000000003F80: BE8F00FF 00020000
	s_mov_b32 s19, 0x20000                                     // 000000003F88: BE9300FF 00020000
	s_mov_b32 s23, 0x20000                                     // 000000003F90: BE9700FF 00020000
	s_mov_b32 s27, 0x20000                                     // 000000003F98: BE9B00FF 00020000
	s_mov_b32 s31, 0x20000                                     // 000000003FA0: BE9F00FF 00020000
	s_mov_b32 s35, 0x20000                                     // 000000003FA8: BEA300FF 00020000
	s_mov_b32 s39, 0x20000                                     // 000000003FB0: BEA700FF 00020000
	s_mov_b32 s43, 0x20000                                     // 000000003FB8: BEAB00FF 00020000
	s_and_b32 s9, s9, 0xffff                                   // 000000003FC0: 8609FF09 0000FFFF
	s_and_b32 s13, s13, 0xffff                                 // 000000003FC8: 860DFF0D 0000FFFF
	s_and_b32 s17, s17, 0xffff                                 // 000000003FD0: 8611FF11 0000FFFF
	s_and_b32 s21, s21, 0xffff                                 // 000000003FD8: 8615FF15 0000FFFF
	s_and_b32 s25, s25, 0xffff                                 // 000000003FE0: 8619FF19 0000FFFF
	s_and_b32 s29, s29, 0xffff                                 // 000000003FE8: 861DFF1D 0000FFFF
	s_and_b32 s33, s33, 0xffff                                 // 000000003FF0: 8621FF21 0000FFFF
	s_and_b32 s37, s37, 0xffff                                 // 000000003FF8: 8625FF25 0000FFFF
	s_and_b32 s41, s41, 0xffff                                 // 000000004000: 8629FF29 0000FFFF
	s_or_b32 s9, s9, 0x40000                                   // 000000004008: 8709FF09 00040000
	s_or_b32 s13, s13, 0x40000                                 // 000000004010: 870DFF0D 00040000
	s_or_b32 s17, s17, 0x40000                                 // 000000004018: 8711FF11 00040000
	s_or_b32 s21, s21, 0x40000                                 // 000000004020: 8715FF15 00040000
	s_or_b32 s25, s25, 0x40000                                 // 000000004028: 8719FF19 00040000
	s_or_b32 s29, s29, 0x40000                                 // 000000004030: 871DFF1D 00040000
	s_or_b32 s33, s33, 0x40000                                 // 000000004038: 8721FF21 00040000
	s_or_b32 s37, s37, 0x40000                                 // 000000004040: 8725FF25 00040000
	s_or_b32 s41, s41, 0x40000                                 // 000000004048: 8729FF29 00040000
	v_accvgpr_write_b32 a255, 0                                // 000000004050: D3D940FF 18000080
	v_mov_b32_e32 v252, 0                                      // 000000004058: 7FF80280
	s_mov_b32 s71, s3                                          // 00000000405C: BEC70003
	v_cvt_f32_u32_e32 v28, s44                                 // 000000004060: 7E380C2C
	s_sub_i32 s60, 0, s44                                      // 000000004064: 81BC2C80
	v_rcp_iflag_f32_e32 v28, v28                               // 000000004068: 7E38471C
	s_nop 0                                                    // 00000000406C: BF800000
	v_mul_f32_e32 v28, 0x4f7ffffe, v28                         // 000000004070: 0A3838FF 4F7FFFFE
	v_cvt_u32_f32_e32 v28, v28                                 // 000000004078: 7E380F1C
	v_mul_lo_u32 v29, s60, v28                                 // 00000000407C: D285001D 0002383C
	v_mul_hi_u32 v29, v28, v29                                 // 000000004084: D286001D 00023B1C
	v_add_u32_e32 v28, v28, v29                                // 00000000408C: 68383B1C
	v_mul_hi_u32 v28, s71, v28                                 // 000000004090: D286001C 00023847
	v_mul_lo_u32 v29, v28, s44                                 // 000000004098: D285001D 0000591C
	v_sub_u32_e32 v31, s71, v29                                // 0000000040A0: 6A3E3A47
	v_add_u32_e32 v30, 1, v28                                  // 0000000040A4: 683C3881
	v_cmp_le_u32_e32 vcc, s44, v31                             // 0000000040A8: 7D963E2C
	v_subrev_u32_e32 v29, s44, v31                             // 0000000040AC: 6C3A3E2C
	s_nop 0                                                    // 0000000040B0: BF800000
	v_cndmask_b32_e32 v28, v28, v30, vcc                       // 0000000040B4: 00383D1C
	v_cndmask_b32_e32 v31, v31, v29, vcc                       // 0000000040B8: 003E3B1F
	v_add_u32_e32 v29, 1, v28                                  // 0000000040BC: 683A3881
	v_cmp_le_u32_e32 vcc, s44, v31                             // 0000000040C0: 7D963E2C
	s_nop 1                                                    // 0000000040C4: BF800001
	v_cndmask_b32_e32 v31, v28, v29, vcc                       // 0000000040C8: 003E3B1C
	s_nop 3                                                    // 0000000040CC: BF800003
	v_readfirstlane_b32 s45, v31                               // 0000000040D0: 7E5A051F
	s_nop 3                                                    // 0000000040D4: BF800003
	s_waitcnt lgkmcnt(0)                                       // 0000000040D8: BF8CC07F
	s_mul_i32 s61, s2, 0x180                                   // 0000000040DC: 923DFF02 00000180
	s_sub_i32 s87, s87, s86                                    // 0000000040E4: 81D75657
	s_mov_b32 s86, s94                                         // 0000000040E8: BED6005E
	s_sub_i32 s85, s85, s84                                    // 0000000040EC: 81D55455
	s_mov_b32 s84, s90                                         // 0000000040F0: BED4005A
	s_cmp_gt_i32 s85, 0                                        // 0000000040F4: BF028055
	s_cbranch_scc0 label_17B9                                  // 0000000040F8: BF8416E6
	s_mov_b32 s59, 0                                           // 0000000040FC: BEBB0080
	s_mov_b32 s58, s85                                         // 000000004100: BEBA0055
	s_cmp_ge_i32 s61, s87                                      // 000000004104: BF03573D
	s_cbranch_scc1 label_17B9                                  // 000000004108: BF8516E2
	s_mul_i32 s61, s45, s79                                    // 00000000410C: 923D4F2D
	s_mov_b32 s54, s61                                         // 000000004110: BEB6003D
	s_add_u32 s12, s54, s12                                    // 000000004114: 800C0C36
	s_addc_u32 s13, 0, s13                                     // 000000004118: 820D0D80
	s_mul_i32 s60, s86, s6                                     // 00000000411C: 923C0656
	s_mul_hi_u32 s61, s86, s6                                  // 000000004120: 963D0656
	s_and_b32 s61, s61, 0xffff                                 // 000000004124: 863DFF3D 0000FFFF
	s_add_u32 s12, s12, s60                                    // 00000000412C: 800C3C0C
	s_addc_u32 s13, s13, s61                                   // 000000004130: 820D3D0D
	s_mul_i32 s61, s45, s80                                    // 000000004134: 923D502D
	s_mov_b32 s54, s61                                         // 000000004138: BEB6003D
	s_add_u32 s16, s54, s16                                    // 00000000413C: 80101036
	s_addc_u32 s17, 0, s17                                     // 000000004140: 82111180
	s_mul_i32 s60, s86, s7                                     // 000000004144: 923C0756
	s_mul_hi_u32 s61, s86, s7                                  // 000000004148: 963D0756
	s_and_b32 s61, s61, 0xffff                                 // 00000000414C: 863DFF3D 0000FFFF
	s_add_u32 s16, s16, s60                                    // 000000004154: 80103C10
	s_addc_u32 s17, s17, s61                                   // 000000004158: 82113D11
	s_mul_i32 s61, s3, s78                                     // 00000000415C: 923D4E03
	s_mov_b32 s55, s61                                         // 000000004160: BEB7003D
	s_add_u32 s8, s55, s8                                      // 000000004164: 80080837
	s_addc_u32 s9, 0, s9                                       // 000000004168: 82090980
	s_mul_i32 s60, s84, s5                                     // 00000000416C: 923C0554
	s_mul_hi_u32 s61, s84, s5                                  // 000000004170: 963D0554
	s_and_b32 s61, s61, 0xffff                                 // 000000004174: 863DFF3D 0000FFFF
	s_add_u32 s8, s8, s60                                      // 00000000417C: 80083C08
	s_addc_u32 s9, s9, s61                                     // 000000004180: 82093D09
	s_mul_i32 s61, s3, s81                                     // 000000004184: 923D5103
	s_mov_b32 s56, s61                                         // 000000004188: BEB8003D
	s_add_u32 s20, s56, s20                                    // 00000000418C: 80141438
	s_addc_u32 s21, 0, s21                                     // 000000004190: 82151580
	s_mul_i32 s60, s84, s51                                    // 000000004194: 923C3354
	s_mul_hi_u32 s61, s84, s51                                 // 000000004198: 963D3354
	s_and_b32 s61, s61, 0xffff                                 // 00000000419C: 863DFF3D 0000FFFF
	s_add_u32 s20, s20, s60                                    // 0000000041A4: 80143C14
	s_addc_u32 s21, s21, s61                                   // 0000000041A8: 82153D15
	s_mul_i32 s62, 4, s84                                      // 0000000041AC: 923E5484
	s_mul_i32 s61, s3, s49                                     // 0000000041B0: 923D3103
	s_add_u32 s65, s61, s62                                    // 0000000041B4: 80413E3D
	s_mov_b32 s26, s85                                         // 0000000041B8: BE9A0055
	s_mov_b32 s30, s85                                         // 0000000041BC: BE9E0055
	s_add_u32 s24, s65, s24                                    // 0000000041C0: 80181841
	s_addc_u32 s25, 0, s25                                     // 0000000041C4: 82191980
	s_add_u32 s28, s65, s28                                    // 0000000041C8: 801C1C41
	s_addc_u32 s29, 0, s29                                     // 0000000041CC: 821D1D80
	s_mul_i32 s61, s3, s82                                     // 0000000041D0: 923D5203
	s_mul_i32 s62, s86, s52                                    // 0000000041D4: 923E3456
	s_add_u32 s60, s61, s62                                    // 0000000041D8: 803C3E3D
	s_mul_hi_u32 s61, s86, s52                                 // 0000000041DC: 963D3456
	s_and_b32 s61, s61, 0xffff                                 // 0000000041E0: 863DFF3D 0000FFFF
	s_add_u32 s36, s60, s36                                    // 0000000041E8: 8024243C
	s_addc_u32 s37, s61, s37                                   // 0000000041EC: 8225253D
	s_mul_i32 s60, s87, s52                                    // 0000000041F0: 923C3457
	s_lshr_b32 s60, s60, 2                                     // 0000000041F4: 8F3C823C
	s_mov_b32 s38, s60                                         // 0000000041F8: BEA6003C
	s_mul_i32 s61, s3, s83                                     // 0000000041FC: 923D5303
	s_mul_i32 s62, s86, s53                                    // 000000004200: 923E3556
	s_add_u32 s60, s61, s62                                    // 000000004204: 803C3E3D
	s_mul_hi_u32 s61, s86, s53                                 // 000000004208: 963D3556
	s_and_b32 s61, s61, 0xffff                                 // 00000000420C: 863DFF3D 0000FFFF
	s_add_u32 s40, s60, s40                                    // 000000004214: 8028283C
	s_addc_u32 s41, s61, s41                                   // 000000004218: 8229293D
	s_mul_i32 s60, s87, s53                                    // 00000000421C: 923C3557
	s_lshr_b32 s60, s60, 2                                     // 000000004220: 8F3C823C
	s_mov_b32 s42, s60                                         // 000000004224: BEAA003C
	s_mul_i32 s60, s50, s65                                    // 000000004228: 923C4132
	s_mul_hi_u32 s62, s50, s65                                 // 00000000422C: 963E4132
	s_and_b32 s62, s62, 0xffff                                 // 000000004230: 863EFF3E 0000FFFF
	s_add_u32 s32, s60, s32                                    // 000000004238: 8020203C
	s_addc_u32 s33, s62, s33                                   // 00000000423C: 8221213E
	s_mul_i32 s60, s50, s85                                    // 000000004240: 923C5532
	s_lshl_b32 s60, s60, 2                                     // 000000004244: 8E3C823C
	s_mov_b32 s34, s60                                         // 000000004248: BEA2003C
	s_mov_b32 s90, s8                                          // 00000000424C: BEDA0008
	s_mov_b32 s94, s12                                         // 000000004250: BEDE000C
	s_mov_b32 s96, s16                                         // 000000004254: BEE00010
	s_mov_b32 s98, s20                                         // 000000004258: BEE20014
	s_mov_b32 s91, s9                                          // 00000000425C: BEDB0009
	s_mov_b32 s95, s13                                         // 000000004260: BEDF000D
	s_mov_b32 s97, s17                                         // 000000004264: BEE10011
	s_mov_b32 s99, s21                                         // 000000004268: BEE30015
	s_add_u32 s71, 0xbf, s87                                   // 00000000426C: 804757FF 000000BF
	s_mov_b32 s74, 0xc0                                        // 000000004274: BECA00FF 000000C0
	v_cvt_f32_u32_e32 v28, s74                                 // 00000000427C: 7E380C4A
	s_sub_i32 s60, 0, s74                                      // 000000004280: 81BC4A80
	v_rcp_iflag_f32_e32 v28, v28                               // 000000004284: 7E38471C
	s_nop 0                                                    // 000000004288: BF800000
	v_mul_f32_e32 v28, 0x4f7ffffe, v28                         // 00000000428C: 0A3838FF 4F7FFFFE
	v_cvt_u32_f32_e32 v28, v28                                 // 000000004294: 7E380F1C
	v_mul_lo_u32 v29, s60, v28                                 // 000000004298: D285001D 0002383C
	v_mul_hi_u32 v29, v28, v29                                 // 0000000042A0: D286001D 00023B1C
	v_add_u32_e32 v28, v28, v29                                // 0000000042A8: 68383B1C
	v_mul_hi_u32 v28, s71, v28                                 // 0000000042AC: D286001C 00023847
	v_mul_lo_u32 v29, v28, s74                                 // 0000000042B4: D285001D 0000951C
	v_sub_u32_e32 v31, s71, v29                                // 0000000042BC: 6A3E3A47
	v_add_u32_e32 v30, 1, v28                                  // 0000000042C0: 683C3881
	v_cmp_le_u32_e32 vcc, s74, v31                             // 0000000042C4: 7D963E4A
	v_subrev_u32_e32 v29, s74, v31                             // 0000000042C8: 6C3A3E4A
	s_nop 0                                                    // 0000000042CC: BF800000
	v_cndmask_b32_e32 v28, v28, v30, vcc                       // 0000000042D0: 00383D1C
	v_cndmask_b32_e32 v31, v31, v29, vcc                       // 0000000042D4: 003E3B1F
	v_add_u32_e32 v29, 1, v28                                  // 0000000042D8: 683A3881
	v_cmp_le_u32_e32 vcc, s74, v31                             // 0000000042DC: 7D963E4A
	s_nop 1                                                    // 0000000042E0: BF800001
	v_cndmask_b32_e32 v31, v28, v29, vcc                       // 0000000042E4: 003E3B1C
	s_nop 3                                                    // 0000000042E8: BF800003
	v_readfirstlane_b32 s77, v31                               // 0000000042EC: 7E9A051F
	s_nop 3                                                    // 0000000042F0: BF800003
	v_mov_b32_e32 v28, s47                                     // 0000000042F4: 7E38022F
	v_mul_f32_e32 v28, s48, v28                                // 0000000042F8: 0A383830
	s_mov_b32 s63, 0x5040100                                   // 0000000042FC: BEBF00FF 05040100
	s_mov_b32 s64, 0x7060302                                   // 000000004304: BEC000FF 07060302
	v_readfirstlane_b32 s57, v28                               // 00000000430C: 7E72051C
	v_mov_b32_e32 v30, 0x3020706                               // 000000004310: 7E3C02FF 03020706
	v_mov_b32_e32 v28, s63                                     // 000000004318: 7E38023F
	v_and_b32_e32 v29, 1, v0                                   // 00000000431C: 263A0081
	v_cmp_eq_u32_e32 vcc, 1, v29                               // 000000004320: 7D943A81
	s_mul_i32 s60, s50, 64                                     // 000000004324: 923CC032
	s_mov_b32 s67, s60                                         // 000000004328: BEC3003C
	v_cndmask_b32_e32 v15, v28, v30, vcc                       // 00000000432C: 001E3D1C
	s_cmp_lt_u32 s46, 2                                        // 000000004330: BF0A822E
	s_cselect_b32 s24, s24, s28                                // 000000004334: 85181C18
	s_cselect_b32 s25, s25, s29                                // 000000004338: 85191D19
	s_cselect_b32 s26, s26, s30                                // 00000000433C: 851A1E1A
	s_cselect_b32 s27, s27, s31                                // 000000004340: 851B1F1B
	s_lshr_b32 s60, s46, 1                                     // 000000004344: 8F3C812E
	s_lshl_b32 s60, s60, 8                                     // 000000004348: 8E3C883C
	s_add_u32 s78, 0xc600, s60                                 // 00000000434C: 804E3CFF 0000C600
	s_add_u32 s79, 0x200, s78                                  // 000000004354: 804F4EFF 00000200
	s_mov_b32 s75, 0                                           // 00000000435C: BECB0080
	s_mov_b32 s76, 1                                           // 000000004360: BECC0081
	s_lshl_b32 s60, s2, 1                                      // 000000004364: 8E3C8102
	s_add_u32 s60, 1, s60                                      // 000000004368: 803C3C81
	s_cmp_ge_i32 s60, s77                                      // 00000000436C: BF034D3C
	s_cselect_b32 s76, s76, 2                                  // 000000004370: 854C824C

0000000000004374 <label_015D>:
	s_mov_b32 m0, s78                                          // 000000004374: BEFC004E
	s_mov_b32 s66, 0                                           // 000000004378: BEC20080
	v_mov_b32_e32 v151, 0xff800000                             // 00000000437C: 7F2E02FF FF800000
	s_mov_b32 s74, 0                                           // 000000004384: BECA0080
	s_mul_i32 s68, 4, s5                                       // 000000004388: 92440584
	s_mul_i32 s100, 4, s51                                     // 00000000438C: 92643384
	s_mov_b32 s69, 16                                          // 000000004390: BEC50090
	s_mul_i32 s83, 0xc0, s2                                    // 000000004394: 925302FF 000000C0
	s_sub_i32 s60, s87, s85                                    // 00000000439C: 81BC5557
	s_sub_i32 s71, s83, s60                                    // 0000000043A0: 81C73C53
	s_cmp_ge_i32 s71, 0                                        // 0000000043A4: BF038047
	s_cselect_b32 s59, s71, 0                                  // 0000000043A8: 853B8047
	s_add_i32 s60, s71, 0xc0                                   // 0000000043AC: 813CFF47 000000C0
	s_cmp_le_i32 s60, 0                                        // 0000000043B4: BF05803C
	s_cbranch_scc0 label_0171                                  // 0000000043B8: BF840002
	s_mov_b32 s82, 0                                           // 0000000043BC: BED20080
	s_branch label_017D                                        // 0000000043C0: BF82000C

00000000000043c4 <label_0171>:
	s_mov_b32 s82, 1                                           // 0000000043C4: BED20081
	s_sub_i32 s60, s59, s71                                    // 0000000043C8: 81BC473B
	v_lshrrev_b32_e32 v28, 4, v0                               // 0000000043CC: 20380084
	v_mul_i32_i24_e32 v28, 4, v28                              // 0000000043D0: 0C383884
	v_add_i32 v28, v28, s60                                    // 0000000043D4: D29C001C 0000791C
	v_and_b32_e32 v29, 15, v0                                  // 0000000043DC: 263A008F
	v_mul_i32_i24_e64 v30, s46, 16                             // 0000000043E0: D106001E 0001202E
	v_add_u32_e32 v29, v29, v30                                // 0000000043E8: 683A3D1D
	v_sub_i32 v252, v29, v28                                   // 0000000043EC: D29D00FC 0002391D

00000000000043f4 <label_017D>:
	s_mul_i32 s54, s6, s83                                     // 0000000043F4: 92365306
	s_sub_i32 s61, s87, s83                                    // 0000000043F8: 81BD5357
	s_mul_i32 s62, s6, s61                                     // 0000000043FC: 923E3D06
	s_lshr_b32 s62, s62, 2                                     // 000000004400: 8F3E823E
	s_mov_b32 s14, s62                                         // 000000004404: BE8E003E
	s_add_u32 s12, s54, s94                                    // 000000004408: 800C5E36
	s_addc_u32 s13, 0, s95                                     // 00000000440C: 820D5F80
	s_mul_i32 s54, s7, s83                                     // 000000004410: 92365307
	s_mul_i32 s62, s7, s61                                     // 000000004414: 923E3D07
	s_lshr_b32 s62, s62, 2                                     // 000000004418: 8F3E823E
	s_mov_b32 s18, s62                                         // 00000000441C: BE92003E
	s_add_u32 s16, s54, s96                                    // 000000004420: 80106036
	s_addc_u32 s17, 0, s97                                     // 000000004424: 82116180
	s_mov_b32 s71, s6                                          // 000000004428: BEC70006
	v_lshrrev_b32_e32 v28, 4, v0                               // 00000000442C: 20380084
	v_and_b32_e32 v29, 1, v28                                  // 000000004430: 263A3881
	v_lshlrev_b32_e32 v29, 1, v29                              // 000000004434: 243A3A81
	v_mul_i32_i24_e32 v29, s71, v29                            // 000000004438: 0C3A3A47
	v_and_b32_e32 v30, 2, v28                                  // 00000000443C: 263C3882
	v_lshlrev_b32_e32 v30, 5, v30                              // 000000004440: 243C3C85
	v_add_u32_e32 v29, v30, v29                                // 000000004444: 683A3B1E
	v_and_b32_e32 v28, 15, v0                                  // 000000004448: 2638008F
	v_lshlrev_b32_e32 v28, 2, v28                              // 00000000444C: 24383882
	v_add_u32_e32 v1, v28, v29                                 // 000000004450: 68023B1C
	s_and_b32 s60, 1, s46                                      // 000000004454: 863C2E81
	s_mul_i32 s60, s60, s71                                    // 000000004458: 923C473C
	s_mul_i32 s60, s60, 8                                      // 00000000445C: 923C883C
	s_lshr_b32 s61, s46, 1                                     // 000000004460: 8F3D812E
	s_mul_i32 s61, s61, 0x80                                   // 000000004464: 923DFF3D 00000080
	s_add_u32 s60, s60, s61                                    // 00000000446C: 803C3D3C
	v_add_u32_e32 v1, s60, v1                                  // 000000004470: 6802023C
	v_add_u32_e32 v2, s71, v1                                  // 000000004474: 68040247
	s_mul_i32 s60, 4, s71                                      // 000000004478: 923C4784
	v_add_u32_e32 v3, s60, v1                                  // 00000000447C: 6806023C
	v_add_u32_e32 v4, s60, v2                                  // 000000004480: 6808043C
	s_mov_b32 s71, s7                                          // 000000004484: BEC70007
	v_lshrrev_b32_e32 v28, 4, v0                               // 000000004488: 20380084
	v_and_b32_e32 v29, 1, v28                                  // 00000000448C: 263A3881
	v_lshlrev_b32_e32 v29, 1, v29                              // 000000004490: 243A3A81
	v_mul_i32_i24_e32 v29, s71, v29                            // 000000004494: 0C3A3A47
	v_and_b32_e32 v30, 2, v28                                  // 000000004498: 263C3882
	v_lshlrev_b32_e32 v30, 5, v30                              // 00000000449C: 243C3C85
	v_add_u32_e32 v29, v30, v29                                // 0000000044A0: 683A3B1E
	v_and_b32_e32 v28, 15, v0                                  // 0000000044A4: 2638008F
	v_lshlrev_b32_e32 v28, 2, v28                              // 0000000044A8: 24383882
	v_add_u32_e32 v248, v28, v29                               // 0000000044AC: 69F03B1C
	s_and_b32 s60, 1, s46                                      // 0000000044B0: 863C2E81
	s_mul_i32 s60, s60, s71                                    // 0000000044B4: 923C473C
	s_mul_i32 s60, s60, 8                                      // 0000000044B8: 923C883C
	s_lshr_b32 s61, s46, 1                                     // 0000000044BC: 8F3D812E
	s_mul_i32 s61, s61, 0x80                                   // 0000000044C0: 923DFF3D 00000080
	s_add_u32 s60, s60, s61                                    // 0000000044C8: 803C3D3C
	v_add_u32_e32 v248, s60, v248                              // 0000000044CC: 69F1F03C
	v_add_u32_e32 v249, s71, v248                              // 0000000044D0: 69F3F047
	s_mul_i32 s60, 4, s71                                      // 0000000044D4: 923C4784
	v_add_u32_e32 v250, s60, v248                              // 0000000044D8: 69F5F03C
	v_add_u32_e32 v251, s60, v249                              // 0000000044DC: 69F7F23C
	v_lshrrev_b32_e32 v1, 2, v1                                // 0000000044E0: 20020282
	v_lshrrev_b32_e32 v2, 2, v2                                // 0000000044E4: 20040482
	v_lshrrev_b32_e32 v3, 2, v3                                // 0000000044E8: 20060682
	v_lshrrev_b32_e32 v4, 2, v4                                // 0000000044EC: 20080882
	v_lshrrev_b32_e32 v248, 2, v248                            // 0000000044F0: 21F1F082
	v_lshrrev_b32_e32 v249, 2, v249                            // 0000000044F4: 21F3F282
	v_lshrrev_b32_e32 v250, 2, v250                            // 0000000044F8: 21F5F482
	v_lshrrev_b32_e32 v251, 2, v251                            // 0000000044FC: 21F7F682
	s_mov_b32 s70, s52                                         // 000000004500: BEC60034
	v_lshrrev_b32_e32 v28, 4, v0                               // 000000004504: 20380084
	v_mul_i32_i24_e32 v5, s70, v28                             // 000000004508: 0C0A3846
	v_lshrrev_b32_e32 v5, 2, v5                                // 00000000450C: 200A0A82
	v_and_b32_e32 v28, 15, v0                                  // 000000004510: 2638008F
	v_lshlrev_b32_e32 v29, 2, v28                              // 000000004514: 243A3882
	v_add_u32_e32 v5, v29, v5                                  // 000000004518: 680A0B1D
	s_mul_i32 s60, 16, s70                                     // 00000000451C: 923C4690
	s_mul_i32 s60, s46, s60                                    // 000000004520: 923C3C2E
	v_lshlrev_b32_e32 v5, 2, v5                                // 000000004524: 240A0A82
	v_add_u32_e32 v5, s60, v5                                  // 000000004528: 680A0A3C
	s_mul_i32 s60, s52, s83                                    // 00000000452C: 923C5334
	v_add_u32_e32 v5, s60, v5                                  // 000000004530: 680A0A3C
	v_lshrrev_b32_e32 v5, 2, v5                                // 000000004534: 200A0A82
	s_mov_b32 s70, s53                                         // 000000004538: BEC60035
	v_lshrrev_b32_e32 v28, 4, v0                               // 00000000453C: 20380084
	v_mul_i32_i24_e32 v6, s70, v28                             // 000000004540: 0C0C3846
	v_lshrrev_b32_e32 v6, 2, v6                                // 000000004544: 200C0C82
	v_and_b32_e32 v28, 15, v0                                  // 000000004548: 2638008F
	v_lshlrev_b32_e32 v29, 2, v28                              // 00000000454C: 243A3882
	v_add_u32_e32 v6, v29, v6                                  // 000000004550: 680C0D1D
	s_mul_i32 s60, 16, s70                                     // 000000004554: 923C4690
	s_mul_i32 s60, s46, s60                                    // 000000004558: 923C3C2E
	v_lshlrev_b32_e32 v6, 2, v6                                // 00000000455C: 240C0C82
	v_add_u32_e32 v6, s60, v6                                  // 000000004560: 680C0C3C
	s_mul_i32 s60, s53, s83                                    // 000000004564: 923C5335
	v_add_u32_e32 v6, s60, v6                                  // 000000004568: 680C0C3C
	v_lshrrev_b32_e32 v6, 2, v6                                // 00000000456C: 200C0C82
	s_cmp_ge_i32 s59, s85                                      // 000000004570: BF03553B
	s_cselect_b32 s59, s85, s59                                // 000000004574: 853B3B55
	s_add_u32 s73, 16, s59                                     // 000000004578: 80493B90
	s_mul_i32 s55, s5, s59                                     // 00000000457C: 92373B05
	s_sub_i32 s61, s85, s59                                    // 000000004580: 81BD3B55
	s_mul_i32 s62, s5, s61                                     // 000000004584: 923E3D05
	s_lshr_b32 s62, s62, 2                                     // 000000004588: 8F3E823E
	s_mov_b32 s10, s62                                         // 00000000458C: BE8A003E
	s_add_u32 s8, s55, s90                                     // 000000004590: 80085A37
	s_addc_u32 s9, 0, s91                                      // 000000004594: 82095B80
	s_mul_i32 s56, s51, s59                                    // 000000004598: 92383B33
	s_mul_i32 s62, s51, s61                                    // 00000000459C: 923E3D33
	s_lshr_b32 s62, s62, 2                                     // 0000000045A0: 8F3E823E
	s_mov_b32 s22, s62                                         // 0000000045A4: BE96003E
	s_add_u32 s20, s56, s98                                    // 0000000045A8: 80146238
	s_addc_u32 s21, 0, s99                                     // 0000000045AC: 82156380
	s_mul_i32 s65, s59, 4                                      // 0000000045B0: 9241843B
	v_and_b32_e32 v9, 15, v0                                   // 0000000045B4: 2612008F
	v_lshlrev_b32_e32 v9, 2, v9                                // 0000000045B8: 24121282
	v_add_u32_e32 v9, s65, v9                                  // 0000000045BC: 68121241
	v_lshrrev_b32_e32 v9, 2, v9                                // 0000000045C0: 20121282
	v_lshrrev_b32_e32 v28, 5, v0                               // 0000000045C4: 20380085
	v_mul_i32_i24_e64 v29, s50, 2                              // 0000000045C8: D106001D 00010432
	v_mul_i32_i24_e32 v7, v29, v28                             // 0000000045D0: 0C0E391D
	v_and_b32_e32 v28, 31, v0                                  // 0000000045D4: 2638009F
	v_add_u32_e32 v7, v28, v7                                  // 0000000045D8: 680E0F1C
	s_mul_i32 s60, 4, s50                                      // 0000000045DC: 923C3284
	s_mul_i32 s60, s46, s60                                    // 0000000045E0: 923C3C2E
	v_add_u32_e32 v7, s60, v7                                  // 0000000045E4: 680E0E3C
	v_lshlrev_b32_e32 v7, 2, v7                                // 0000000045E8: 240E0E82
	v_mul_i32_i24_e32 v29, 2, v29                              // 0000000045EC: 0C3A3A82
	v_add_u32_e32 v8, v29, v7                                  // 0000000045F0: 68100F1D
	s_mul_i32 s60, s50, s65                                    // 0000000045F4: 923C4132
	v_add_u32_e32 v7, s60, v7                                  // 0000000045F8: 680E0E3C
	v_add_u32_e32 v8, s60, v8                                  // 0000000045FC: 6810103C
	s_mul_i32 s60, 3, s2                                       // 000000004600: 923C0283
	s_add_u32 s61, s87, 63                                     // 000000004604: 803DBF57
	s_lshr_b32 s61, s61, 6                                     // 000000004608: 8F3D863D
	s_sub_i32 s72, s61, s60                                    // 00000000460C: 81C83C3D
	s_cmp_lt_i32 s72, 3                                        // 000000004610: BF048348
	s_cselect_b32 s72, s72, 3                                  // 000000004614: 85488348
	s_mul_i32 s60, 0xc0, s2                                    // 000000004618: 923C02FF 000000C0
	s_sub_i32 s84, s87, s60                                    // 000000004620: 81D43C57
	v_and_b32_e32 v28, 31, v0                                  // 000000004624: 2638009F
	v_lshrrev_b32_e32 v28, 1, v28                              // 000000004628: 20383881
	v_and_b32_e32 v29, 1, v28                                  // 00000000462C: 263A3881
	v_lshlrev_b32_e32 v29, 4, v29                              // 000000004630: 243A3A84
	v_and_b32_e32 v30, 2, v28                                  // 000000004634: 263C3882
	v_lshlrev_b32_e32 v30, 2, v30                              // 000000004638: 243C3C82
	v_add_u32_e32 v29, v30, v29                                // 00000000463C: 683A3B1E
	v_and_b32_e32 v30, 12, v28                                 // 000000004640: 263C388C
	v_lshrrev_b32_e32 v30, 1, v30                              // 000000004644: 203C3C81
	v_add_u32_e32 v29, v30, v29                                // 000000004648: 683A3B1E
	v_lshrrev_b32_e32 v28, 5, v0                               // 00000000464C: 20380085
	v_mul_i32_i24_e32 v30, 0x80, v28                           // 000000004650: 0C3C38FF 00000080
	v_add_u32_e32 v29, v30, v29                                // 000000004658: 683A3B1E
	v_and_b32_e32 v30, 1, v0                                   // 00000000465C: 263C0081
	v_add_u32_e32 v11, v30, v29                                // 000000004660: 68163B1E
	s_and_b32 s60, 1, s46                                      // 000000004664: 863C2E81
	s_mul_i32 s60, s60, 64                                     // 000000004668: 923CC03C
	s_lshr_b32 s61, s46, 1                                     // 00000000466C: 8F3D812E
	s_mul_i32 s61, s61, 0x220                                  // 000000004670: 923DFF3D 00000220
	s_add_u32 s60, s60, s61                                    // 000000004678: 803C3D3C
	v_add_u32_e32 v11, s60, v11                                // 00000000467C: 6816163C
	v_lshlrev_b32_e32 v11, 2, v11                              // 000000004680: 24161682
	v_lshrrev_b32_e32 v28, 4, v0                               // 000000004684: 20380084
	v_and_b32_e32 v29, 1, v28                                  // 000000004688: 263A3881
	v_lshlrev_b32_e32 v29, 4, v29                              // 00000000468C: 243A3A84
	v_and_b32_e32 v30, 2, v28                                  // 000000004690: 263C3882
	v_mul_i32_i24_e32 v30, 4, v30                              // 000000004694: 0C3C3C84
	v_add_u32_e32 v29, v30, v29                                // 000000004698: 683A3B1E
	v_and_b32_e32 v28, 15, v0                                  // 00000000469C: 2638008F
	v_lshrrev_b32_e32 v30, 2, v28                              // 0000000046A0: 203C3882
	v_lshlrev_b32_e32 v30, 5, v30                              // 0000000046A4: 243C3C85
	v_add_u32_e32 v29, v30, v29                                // 0000000046A8: 683A3B1E
	v_and_b32_e32 v28, 3, v0                                   // 0000000046AC: 26380083
	v_and_b32_e32 v30, 1, v28                                  // 0000000046B0: 263C3881
	v_mul_i32_i24_e32 v30, 0x108, v30                          // 0000000046B4: 0C3C3CFF 00000108
	v_add_u32_e32 v29, v30, v29                                // 0000000046BC: 683A3B1E
	v_and_b32_e32 v30, 2, v28                                  // 0000000046C0: 263C3882
	v_lshlrev_b32_e32 v30, 1, v30                              // 0000000046C4: 243C3C81
	v_add_u32_e32 v10, v30, v29                                // 0000000046C8: 68143B1E
	v_lshlrev_b32_e32 v10, 2, v10                              // 0000000046CC: 24141482
	s_mul_i32 s60, s46, 0x1100                                 // 0000000046D0: 923CFF2E 00001100
	v_add_u32_e32 v22, s60, v10                                // 0000000046D8: 682C143C
	v_lshrrev_b32_e32 v28, 5, v0                               // 0000000046DC: 20380085
	v_mul_i32_i24_e32 v13, 0x80, v28                           // 0000000046E0: 0C1A38FF 00000080
	v_and_b32_e32 v28, 31, v0                                  // 0000000046E8: 2638009F
	v_and_b32_e32 v29, 7, v28                                  // 0000000046EC: 263A3887
	v_and_b32_e32 v30, 1, v29                                  // 0000000046F0: 263C3A81
	v_lshlrev_b32_e32 v30, 2, v30                              // 0000000046F4: 243C3C82
	v_add_u32_e32 v13, v30, v13                                // 0000000046F8: 681A1B1E
	v_and_b32_e32 v30, 2, v29                                  // 0000000046FC: 263C3A82
	v_lshlrev_b32_e32 v30, 3, v30                              // 000000004700: 243C3C83
	v_add_u32_e32 v13, v30, v13                                // 000000004704: 681A1B1E
	v_and_b32_e32 v30, 4, v29                                  // 000000004708: 263C3A84
	v_lshlrev_b32_e32 v30, 1, v30                              // 00000000470C: 243C3C81
	v_add_u32_e32 v13, v30, v13                                // 000000004710: 681A1B1E
	v_lshrrev_b32_e32 v29, 3, v28                              // 000000004714: 203A3883
	v_and_b32_e32 v30, 1, v29                                  // 000000004718: 263C3A81
	v_lshlrev_b32_e32 v30, 1, v30                              // 00000000471C: 243C3C81
	v_add_u32_e32 v13, v30, v13                                // 000000004720: 681A1B1E
	v_and_b32_e32 v30, 2, v29                                  // 000000004724: 263C3A82
	v_lshrrev_b32_e32 v30, 1, v30                              // 000000004728: 203C3C81
	v_add_u32_e32 v13, v30, v13                                // 00000000472C: 681A1B1E
	s_and_b32 s60, 1, s46                                      // 000000004730: 863C2E81
	s_mul_i32 s60, s60, 64                                     // 000000004734: 923CC03C
	s_lshr_b32 s61, s46, 1                                     // 000000004738: 8F3D812E
	s_mul_i32 s61, s61, 0x220                                  // 00000000473C: 923DFF3D 00000220
	s_add_u32 s60, s60, s61                                    // 000000004744: 803C3D3C
	v_add_u32_e32 v13, s60, v13                                // 000000004748: 681A1A3C
	v_lshlrev_b32_e32 v13, 2, v13                              // 00000000474C: 241A1A82
	v_and_b32_e32 v28, 15, v0                                  // 000000004750: 2638008F
	v_and_b32_e32 v30, 1, v28                                  // 000000004754: 263C3881
	v_mul_i32_i24_e32 v12, 0x108, v30                          // 000000004758: 0C183CFF 00000108
	v_and_b32_e32 v30, 2, v28                                  // 000000004760: 263C3882
	v_lshlrev_b32_e32 v30, 1, v30                              // 000000004764: 243C3C81
	v_add_u32_e32 v12, v30, v12                                // 000000004768: 6818191E
	v_and_b32_e32 v30, 4, v28                                  // 00000000476C: 263C3884
	v_lshlrev_b32_e32 v30, 2, v30                              // 000000004770: 243C3C82
	v_add_u32_e32 v12, v30, v12                                // 000000004774: 6818191E
	v_and_b32_e32 v30, 8, v28                                  // 000000004778: 263C3888
	v_add_u32_e32 v12, v30, v12                                // 00000000477C: 6818191E
	v_lshrrev_b32_e32 v28, 4, v0                               // 000000004780: 20380084
	v_and_b32_e32 v30, 1, v28                                  // 000000004784: 263C3881
	v_lshlrev_b32_e32 v30, 5, v30                              // 000000004788: 243C3C85
	v_add_u32_e32 v12, v30, v12                                // 00000000478C: 6818191E
	v_and_b32_e32 v29, 2, v28                                  // 000000004790: 263A3882
	v_mul_i32_i24_e32 v30, 32, v29                             // 000000004794: 0C3C3AA0
	v_mul_i32_i24_e32 v29, 0x220, v29                          // 000000004798: 0C3A3AFF 00000220
	v_add_u32_e32 v23, v29, v12                                // 0000000047A0: 682E191D
	v_add_u32_e32 v12, v30, v12                                // 0000000047A4: 6818191E
	v_lshlrev_b32_e32 v12, 2, v12                              // 0000000047A8: 24181882
	v_lshlrev_b32_e32 v23, 2, v23                              // 0000000047AC: 242E2E82
	s_and_b32 s60, 1, s46                                      // 0000000047B0: 863C2E81
	s_mul_i32 s60, s60, 0x200                                  // 0000000047B4: 923CFF3C 00000200
	s_lshr_b32 s61, s46, 1                                     // 0000000047BC: 8F3D812E
	s_mul_i32 s61, s61, 0x880                                  // 0000000047C0: 923DFF3D 00000880
	s_add_u32 s60, s60, s61                                    // 0000000047C8: 803C3D3C
	v_add_u32_e32 v23, s60, v23                                // 0000000047CC: 682E2E3C
	v_lshrrev_b32_e32 v28, 4, v0                               // 0000000047D0: 20380084
	v_mul_i32_i24_e32 v21, 4, v28                              // 0000000047D4: 0C2A3884
	v_and_b32_e32 v29, 3, v0                                   // 0000000047D8: 263A0083
	v_add_u32_e32 v21, v29, v21                                // 0000000047DC: 682A2B1D
	v_lshlrev_b32_e32 v21, 2, v21                              // 0000000047E0: 242A2A82
	v_lshrrev_b32_e32 v28, 4, v0                               // 0000000047E4: 20380084
	v_and_b32_e32 v29, 1, v28                                  // 0000000047E8: 263A3881
	v_mul_i32_i24_e32 v19, 0x100, v29                          // 0000000047EC: 0C263AFF 00000100
	v_and_b32_e32 v29, 2, v28                                  // 0000000047F4: 263A3882
	v_mul_i32_i24_e32 v29, 64, v29                             // 0000000047F8: 0C3A3AC0
	v_add_u32_e32 v19, v29, v19                                // 0000000047FC: 6826271D
	v_and_b32_e32 v28, 15, v0                                  // 000000004800: 2638008F
	v_mul_i32_i24_e32 v29, 2, v28                              // 000000004804: 0C3A3882
	v_add_u32_e32 v19, v29, v19                                // 000000004808: 6826271D
	s_mul_i32 s60, s46, 32                                     // 00000000480C: 923CA02E
	v_add_u32_e32 v19, s60, v19                                // 000000004810: 6826263C
	v_lshlrev_b32_e32 v19, 2, v19                              // 000000004814: 24262682
	v_lshlrev_b32_e32 v20, 1, v0                               // 000000004818: 24280081
	s_mul_i32 s60, s46, 0x200                                  // 00000000481C: 923CFF2E 00000200
	v_add_u32_e32 v20, s60, v20                                // 000000004824: 6828283C
	v_lshlrev_b32_e32 v20, 2, v20                              // 000000004828: 24282882
	v_lshrrev_b32_e32 v28, 5, v0                               // 00000000482C: 20380085
	v_mul_i32_i24_e32 v17, 64, v28                             // 000000004830: 0C2238C0
	v_and_b32_e32 v28, 31, v0                                  // 000000004834: 2638009F
	v_and_b32_e32 v28, 3, v28                                  // 000000004838: 26383883
	v_and_b32_e32 v29, 1, v28                                  // 00000000483C: 263A3881
	v_mul_i32_i24_e32 v29, 4, v29                              // 000000004840: 0C3A3A84
	v_add_u32_e32 v17, v29, v17                                // 000000004844: 6822231D
	v_and_b32_e32 v29, 2, v28                                  // 000000004848: 263A3882
	v_mul_i32_i24_e32 v29, 0x44, v29                           // 00000000484C: 0C3A3AFF 00000044
	v_add_u32_e32 v17, v29, v17                                // 000000004854: 6822231D
	v_and_b32_e32 v28, 31, v0                                  // 000000004858: 2638009F
	v_lshrrev_b32_e32 v28, 2, v28                              // 00000000485C: 20383882
	v_lshrrev_b32_e32 v30, 2, v28                              // 000000004860: 203C3882
	v_mul_i32_i24_e32 v29, 16, v30                             // 000000004864: 0C3A3C90
	v_add_u32_e32 v17, v29, v17                                // 000000004868: 6822231D
	v_and_b32_e32 v29, 2, v28                                  // 00000000486C: 263A3882
	v_lshlrev_b32_e32 v29, 4, v29                              // 000000004870: 243A3A84
	v_add_u32_e32 v17, v29, v17                                // 000000004874: 6822231D
	v_and_b32_e32 v29, 1, v28                                  // 000000004878: 263A3881
	v_xor_b32_e32 v29, v30, v29                                // 00000000487C: 2A3A3B1E
	v_mul_i32_i24_e32 v29, 8, v29                              // 000000004880: 0C3A3A88
	v_add_u32_e32 v17, v29, v17                                // 000000004884: 6822231D
	v_lshlrev_b32_e32 v17, 2, v17                              // 000000004888: 24222282
	v_lshrrev_b32_e32 v28, 5, v0                               // 00000000488C: 20380085
	v_mul_i32_i24_e32 v18, 32, v28                             // 000000004890: 0C2438A0
	v_and_b32_e32 v28, 31, v0                                  // 000000004894: 2638009F
	v_and_b32_e32 v28, 3, v28                                  // 000000004898: 26383883
	v_and_b32_e32 v29, 1, v28                                  // 00000000489C: 263A3881
	v_mul_i32_i24_e32 v29, 4, v29                              // 0000000048A0: 0C3A3A84
	v_add_u32_e32 v18, v29, v18                                // 0000000048A4: 6824251D
	v_and_b32_e32 v29, 2, v28                                  // 0000000048A8: 263A3882
	v_lshrrev_b32_e32 v29, 1, v29                              // 0000000048AC: 203A3A81
	v_add_u32_e32 v18, v29, v18                                // 0000000048B0: 6824251D
	v_and_b32_e32 v28, 31, v0                                  // 0000000048B4: 2638009F
	v_lshrrev_b32_e32 v28, 2, v28                              // 0000000048B8: 20383882
	v_and_b32_e32 v30, 1, v28                                  // 0000000048BC: 263C3881
	v_mul_i32_i24_e32 v29, 16, v30                             // 0000000048C0: 0C3A3C90
	v_add_u32_e32 v18, v29, v18                                // 0000000048C4: 6824251D
	v_and_b32_e32 v29, 2, v28                                  // 0000000048C8: 263A3882
	v_add_u32_e32 v18, v29, v18                                // 0000000048CC: 6824251D
	v_lshrrev_b32_e32 v29, 2, v28                              // 0000000048D0: 203A3882
	v_xor_b32_e32 v29, v30, v29                                // 0000000048D4: 2A3A3B1E
	v_mul_i32_i24_e32 v29, 8, v29                              // 0000000048D8: 0C3A3A88
	v_add_u32_e32 v18, v29, v18                                // 0000000048DC: 6824251D
	s_and_b32 s60, 1, s46                                      // 0000000048E0: 863C2E81
	s_mul_i32 s60, s60, 64                                     // 0000000048E4: 923CC03C
	s_lshr_b32 s61, s46, 1                                     // 0000000048E8: 8F3D812E
	s_mul_i32 s61, s61, 0x120                                  // 0000000048EC: 923DFF3D 00000120
	s_add_u32 s60, s60, s61                                    // 0000000048F4: 803C3D3C
	v_add_u32_e32 v18, s60, v18                                // 0000000048F8: 6824243C
	v_lshlrev_b32_e32 v18, 2, v18                              // 0000000048FC: 24242482
	buffer_load_dword v152, v1, s[12:15], 0 idxen              // 000000004900: E0502000 80039801
	buffer_load_dword v153, v2, s[12:15], 0 idxen              // 000000004908: E0502000 80039902
	buffer_load_dword v154, v3, s[12:15], 0 idxen              // 000000004910: E0502000 80039A03
	buffer_load_dword v155, v4, s[12:15], 0 idxen              // 000000004918: E0502000 80039B04
	s_mul_i32 s60, 4, s6                                       // 000000004920: 923C0684
	s_cmp_lt_i32 0, s72                                        // 000000004924: BF044880
	s_cselect_b32 s60, s60, 0                                  // 000000004928: 853C803C
	v_add_u32_e32 v1, s60, v1                                  // 00000000492C: 6802023C
	v_add_u32_e32 v2, s60, v2                                  // 000000004930: 6804043C
	v_add_u32_e32 v3, s60, v3                                  // 000000004934: 6806063C
	v_add_u32_e32 v4, s60, v4                                  // 000000004938: 6808083C
	buffer_load_dword v156, v1, s[12:15], 0 idxen              // 00000000493C: E0502000 80039C01
	buffer_load_dword v157, v2, s[12:15], 0 idxen              // 000000004944: E0502000 80039D02
	buffer_load_dword v158, v3, s[12:15], 0 idxen              // 00000000494C: E0502000 80039E03
	buffer_load_dword v159, v4, s[12:15], 0 idxen              // 000000004954: E0502000 80039F04
	s_mul_i32 s60, 4, s6                                       // 00000000495C: 923C0684
	s_cmp_lt_i32 0, s72                                        // 000000004960: BF044880
	s_cselect_b32 s60, s60, 0                                  // 000000004964: 853C803C
	v_add_u32_e32 v1, s60, v1                                  // 000000004968: 6802023C
	v_add_u32_e32 v2, s60, v2                                  // 00000000496C: 6804043C
	v_add_u32_e32 v3, s60, v3                                  // 000000004970: 6806063C
	v_add_u32_e32 v4, s60, v4                                  // 000000004974: 6808083C
	buffer_load_dword v160, v1, s[12:15], 0 idxen              // 000000004978: E0502000 8003A001
	buffer_load_dword v161, v2, s[12:15], 0 idxen              // 000000004980: E0502000 8003A102
	buffer_load_dword v162, v3, s[12:15], 0 idxen              // 000000004988: E0502000 8003A203
	buffer_load_dword v163, v4, s[12:15], 0 idxen              // 000000004990: E0502000 8003A304
	s_mul_i32 s60, 4, s6                                       // 000000004998: 923C0684
	s_cmp_lt_i32 0, s72                                        // 00000000499C: BF044880
	s_cselect_b32 s60, s60, 0                                  // 0000000049A0: 853C803C
	v_add_u32_e32 v1, s60, v1                                  // 0000000049A4: 6802023C
	v_add_u32_e32 v2, s60, v2                                  // 0000000049A8: 6804043C
	v_add_u32_e32 v3, s60, v3                                  // 0000000049AC: 6806063C
	v_add_u32_e32 v4, s60, v4                                  // 0000000049B0: 6808083C
	buffer_load_dword v164, v1, s[12:15], 0 idxen              // 0000000049B4: E0502000 8003A401
	buffer_load_dword v165, v2, s[12:15], 0 idxen              // 0000000049BC: E0502000 8003A502
	buffer_load_dword v166, v3, s[12:15], 0 idxen              // 0000000049C4: E0502000 8003A603
	buffer_load_dword v167, v4, s[12:15], 0 idxen              // 0000000049CC: E0502000 8003A704
	s_mul_i32 s60, 4, s6                                       // 0000000049D4: 923C0684
	s_cmp_lt_i32 1, s72                                        // 0000000049D8: BF044881
	s_cselect_b32 s60, s60, 0                                  // 0000000049DC: 853C803C
	v_add_u32_e32 v1, s60, v1                                  // 0000000049E0: 6802023C
	v_add_u32_e32 v2, s60, v2                                  // 0000000049E4: 6804043C
	v_add_u32_e32 v3, s60, v3                                  // 0000000049E8: 6806063C
	v_add_u32_e32 v4, s60, v4                                  // 0000000049EC: 6808083C
	buffer_load_dword v168, v1, s[12:15], 0 idxen              // 0000000049F0: E0502000 8003A801
	buffer_load_dword v169, v2, s[12:15], 0 idxen              // 0000000049F8: E0502000 8003A902
	buffer_load_dword v170, v3, s[12:15], 0 idxen              // 000000004A00: E0502000 8003AA03
	buffer_load_dword v171, v4, s[12:15], 0 idxen              // 000000004A08: E0502000 8003AB04
	s_mul_i32 s60, 4, s6                                       // 000000004A10: 923C0684
	s_cmp_lt_i32 1, s72                                        // 000000004A14: BF044881
	s_cselect_b32 s60, s60, 0                                  // 000000004A18: 853C803C
	v_add_u32_e32 v1, s60, v1                                  // 000000004A1C: 6802023C
	v_add_u32_e32 v2, s60, v2                                  // 000000004A20: 6804043C
	v_add_u32_e32 v3, s60, v3                                  // 000000004A24: 6806063C
	v_add_u32_e32 v4, s60, v4                                  // 000000004A28: 6808083C
	buffer_load_dword v172, v1, s[12:15], 0 idxen              // 000000004A2C: E0502000 8003AC01
	buffer_load_dword v173, v2, s[12:15], 0 idxen              // 000000004A34: E0502000 8003AD02
	buffer_load_dword v174, v3, s[12:15], 0 idxen              // 000000004A3C: E0502000 8003AE03
	buffer_load_dword v175, v4, s[12:15], 0 idxen              // 000000004A44: E0502000 8003AF04
	s_mul_i32 s60, 4, s6                                       // 000000004A4C: 923C0684
	s_cmp_lt_i32 1, s72                                        // 000000004A50: BF044881
	s_cselect_b32 s60, s60, 0                                  // 000000004A54: 853C803C
	v_add_u32_e32 v1, s60, v1                                  // 000000004A58: 6802023C
	v_add_u32_e32 v2, s60, v2                                  // 000000004A5C: 6804043C
	v_add_u32_e32 v3, s60, v3                                  // 000000004A60: 6806063C
	v_add_u32_e32 v4, s60, v4                                  // 000000004A64: 6808083C
	buffer_load_dword v176, v1, s[12:15], 0 idxen              // 000000004A68: E0502000 8003B001
	buffer_load_dword v177, v2, s[12:15], 0 idxen              // 000000004A70: E0502000 8003B102
	buffer_load_dword v178, v3, s[12:15], 0 idxen              // 000000004A78: E0502000 8003B203
	buffer_load_dword v179, v4, s[12:15], 0 idxen              // 000000004A80: E0502000 8003B304
	s_mul_i32 s60, 4, s6                                       // 000000004A88: 923C0684
	s_cmp_lt_i32 1, s72                                        // 000000004A8C: BF044881
	s_cselect_b32 s60, s60, 0                                  // 000000004A90: 853C803C
	v_add_u32_e32 v1, s60, v1                                  // 000000004A94: 6802023C
	v_add_u32_e32 v2, s60, v2                                  // 000000004A98: 6804043C
	v_add_u32_e32 v3, s60, v3                                  // 000000004A9C: 6806063C
	v_add_u32_e32 v4, s60, v4                                  // 000000004AA0: 6808083C
	buffer_load_dword v180, v1, s[12:15], 0 idxen              // 000000004AA4: E0502000 8003B401
	buffer_load_dword v181, v2, s[12:15], 0 idxen              // 000000004AAC: E0502000 8003B502
	buffer_load_dword v182, v3, s[12:15], 0 idxen              // 000000004AB4: E0502000 8003B603
	buffer_load_dword v183, v4, s[12:15], 0 idxen              // 000000004ABC: E0502000 8003B704
	s_mul_i32 s60, 4, s6                                       // 000000004AC4: 923C0684
	s_cmp_lt_i32 2, s72                                        // 000000004AC8: BF044882
	s_cselect_b32 s60, s60, 0                                  // 000000004ACC: 853C803C
	v_add_u32_e32 v1, s60, v1                                  // 000000004AD0: 6802023C
	v_add_u32_e32 v2, s60, v2                                  // 000000004AD4: 6804043C
	v_add_u32_e32 v3, s60, v3                                  // 000000004AD8: 6806063C
	v_add_u32_e32 v4, s60, v4                                  // 000000004ADC: 6808083C
	buffer_load_dword v184, v1, s[12:15], 0 idxen              // 000000004AE0: E0502000 8003B801
	buffer_load_dword v185, v2, s[12:15], 0 idxen              // 000000004AE8: E0502000 8003B902
	buffer_load_dword v186, v3, s[12:15], 0 idxen              // 000000004AF0: E0502000 8003BA03
	buffer_load_dword v187, v4, s[12:15], 0 idxen              // 000000004AF8: E0502000 8003BB04
	s_mul_i32 s60, 4, s6                                       // 000000004B00: 923C0684
	s_cmp_lt_i32 2, s72                                        // 000000004B04: BF044882
	s_cselect_b32 s60, s60, 0                                  // 000000004B08: 853C803C
	v_add_u32_e32 v1, s60, v1                                  // 000000004B0C: 6802023C
	v_add_u32_e32 v2, s60, v2                                  // 000000004B10: 6804043C
	v_add_u32_e32 v3, s60, v3                                  // 000000004B14: 6806063C
	v_add_u32_e32 v4, s60, v4                                  // 000000004B18: 6808083C
	buffer_load_dword v188, v1, s[12:15], 0 idxen              // 000000004B1C: E0502000 8003BC01
	buffer_load_dword v189, v2, s[12:15], 0 idxen              // 000000004B24: E0502000 8003BD02
	buffer_load_dword v190, v3, s[12:15], 0 idxen              // 000000004B2C: E0502000 8003BE03
	buffer_load_dword v191, v4, s[12:15], 0 idxen              // 000000004B34: E0502000 8003BF04
	s_mul_i32 s60, 4, s6                                       // 000000004B3C: 923C0684
	s_cmp_lt_i32 2, s72                                        // 000000004B40: BF044882
	s_cselect_b32 s60, s60, 0                                  // 000000004B44: 853C803C
	v_add_u32_e32 v1, s60, v1                                  // 000000004B48: 6802023C
	v_add_u32_e32 v2, s60, v2                                  // 000000004B4C: 6804043C
	v_add_u32_e32 v3, s60, v3                                  // 000000004B50: 6806063C
	v_add_u32_e32 v4, s60, v4                                  // 000000004B54: 6808083C
	buffer_load_dword v192, v1, s[12:15], 0 idxen              // 000000004B58: E0502000 8003C001
	buffer_load_dword v193, v2, s[12:15], 0 idxen              // 000000004B60: E0502000 8003C102
	buffer_load_dword v194, v3, s[12:15], 0 idxen              // 000000004B68: E0502000 8003C203
	buffer_load_dword v195, v4, s[12:15], 0 idxen              // 000000004B70: E0502000 8003C304
	s_mul_i32 s60, 4, s6                                       // 000000004B78: 923C0684
	s_cmp_lt_i32 2, s72                                        // 000000004B7C: BF044882
	s_cselect_b32 s60, s60, 0                                  // 000000004B80: 853C803C
	v_add_u32_e32 v1, s60, v1                                  // 000000004B84: 6802023C
	v_add_u32_e32 v2, s60, v2                                  // 000000004B88: 6804043C
	v_add_u32_e32 v3, s60, v3                                  // 000000004B8C: 6806063C
	v_add_u32_e32 v4, s60, v4                                  // 000000004B90: 6808083C
	buffer_load_dword v196, v1, s[12:15], 0 idxen              // 000000004B94: E0502000 8003C401
	buffer_load_dword v197, v2, s[12:15], 0 idxen              // 000000004B9C: E0502000 8003C502
	buffer_load_dword v198, v3, s[12:15], 0 idxen              // 000000004BA4: E0502000 8003C603
	buffer_load_dword v199, v4, s[12:15], 0 idxen              // 000000004BAC: E0502000 8003C704
	s_mul_i32 s60, 4, s6                                       // 000000004BB4: 923C0684
	s_cmp_lt_i32 3, s72                                        // 000000004BB8: BF044883
	s_cselect_b32 s60, s60, 0                                  // 000000004BBC: 853C803C
	v_add_u32_e32 v1, s60, v1                                  // 000000004BC0: 6802023C
	v_add_u32_e32 v2, s60, v2                                  // 000000004BC4: 6804043C
	v_add_u32_e32 v3, s60, v3                                  // 000000004BC8: 6806063C
	v_add_u32_e32 v4, s60, v4                                  // 000000004BCC: 6808083C
	s_waitcnt vmcnt(32) lgkmcnt(0)                             // 000000004BD0: BF8C8070
	s_barrier                                                  // 000000004BD4: BF8A0000
	s_cmp_lt_i32 0, s72                                        // 000000004BD8: BF044880
	s_cbranch_scc1 label_0388                                  // 000000004BDC: BF850010
	v_mov_b32_e32 v152, 0                                      // 000000004BE0: 7F300280
	v_mov_b32_e32 v153, 0                                      // 000000004BE4: 7F320280
	v_mov_b32_e32 v154, 0                                      // 000000004BE8: 7F340280
	v_mov_b32_e32 v155, 0                                      // 000000004BEC: 7F360280
	v_mov_b32_e32 v156, 0                                      // 000000004BF0: 7F380280
	v_mov_b32_e32 v157, 0                                      // 000000004BF4: 7F3A0280
	v_mov_b32_e32 v158, 0                                      // 000000004BF8: 7F3C0280
	v_mov_b32_e32 v159, 0                                      // 000000004BFC: 7F3E0280
	v_mov_b32_e32 v160, 0                                      // 000000004C00: 7F400280
	v_mov_b32_e32 v161, 0                                      // 000000004C04: 7F420280
	v_mov_b32_e32 v162, 0                                      // 000000004C08: 7F440280
	v_mov_b32_e32 v163, 0                                      // 000000004C0C: 7F460280
	v_mov_b32_e32 v164, 0                                      // 000000004C10: 7F480280
	v_mov_b32_e32 v165, 0                                      // 000000004C14: 7F4A0280
	v_mov_b32_e32 v166, 0                                      // 000000004C18: 7F4C0280
	v_mov_b32_e32 v167, 0                                      // 000000004C1C: 7F4E0280

0000000000004c20 <label_0388>:
	v_perm_b32 v200, v153, v152, s63                           // 000000004C20: D1ED00C8 00FF3199
	v_perm_b32 v201, v153, v152, s64                           // 000000004C28: D1ED00C9 01033199
	v_perm_b32 v202, v155, v154, s63                           // 000000004C30: D1ED00CA 00FF359B
	v_perm_b32 v203, v155, v154, s64                           // 000000004C38: D1ED00CB 0103359B
	v_perm_b32 v204, v157, v156, s63                           // 000000004C40: D1ED00CC 00FF399D
	v_perm_b32 v205, v157, v156, s64                           // 000000004C48: D1ED00CD 0103399D
	v_perm_b32 v206, v159, v158, s63                           // 000000004C50: D1ED00CE 00FF3D9F
	v_perm_b32 v207, v159, v158, s64                           // 000000004C58: D1ED00CF 01033D9F
	v_perm_b32 v208, v161, v160, s63                           // 000000004C60: D1ED00D0 00FF41A1
	v_perm_b32 v209, v161, v160, s64                           // 000000004C68: D1ED00D1 010341A1
	v_perm_b32 v210, v163, v162, s63                           // 000000004C70: D1ED00D2 00FF45A3
	v_perm_b32 v211, v163, v162, s64                           // 000000004C78: D1ED00D3 010345A3
	v_perm_b32 v212, v165, v164, s63                           // 000000004C80: D1ED00D4 00FF49A5
	v_perm_b32 v213, v165, v164, s64                           // 000000004C88: D1ED00D5 010349A5
	v_perm_b32 v214, v167, v166, s63                           // 000000004C90: D1ED00D6 00FF4DA7
	v_perm_b32 v215, v167, v166, s64                           // 000000004C98: D1ED00D7 01034DA7
	ds_write_b32 v13, v200 offset:17408                        // 000000004CA0: D81A4400 0000C80D
	ds_write_b32 v13, v201 offset:18464                        // 000000004CA8: D81A4820 0000C90D
	ds_write_b32 v13, v202 offset:17536                        // 000000004CB0: D81A4480 0000CA0D
	ds_write_b32 v13, v203 offset:18592                        // 000000004CB8: D81A48A0 0000CB0D
	ds_write_b32 v13, v204 offset:21760                        // 000000004CC0: D81A5500 0000CC0D
	ds_write_b32 v13, v205 offset:22816                        // 000000004CC8: D81A5920 0000CD0D
	ds_write_b32 v13, v206 offset:21888                        // 000000004CD0: D81A5580 0000CE0D
	ds_write_b32 v13, v207 offset:22944                        // 000000004CD8: D81A59A0 0000CF0D
	ds_write_b32 v13, v208 offset:26112                        // 000000004CE0: D81A6600 0000D00D
	ds_write_b32 v13, v209 offset:27168                        // 000000004CE8: D81A6A20 0000D10D
	ds_write_b32 v13, v210 offset:26240                        // 000000004CF0: D81A6680 0000D20D
	ds_write_b32 v13, v211 offset:27296                        // 000000004CF8: D81A6AA0 0000D30D
	ds_write_b32 v13, v212 offset:30464                        // 000000004D00: D81A7700 0000D40D
	ds_write_b32 v13, v213 offset:31520                        // 000000004D08: D81A7B20 0000D50D
	ds_write_b32 v13, v214 offset:30592                        // 000000004D10: D81A7780 0000D60D
	ds_write_b32 v13, v215 offset:31648                        // 000000004D18: D81A7BA0 0000D70D
	ds_write_b32 v11, v152                                     // 000000004D20: D81A0000 0000980B
	ds_write_b32 v11, v153 offset:1056                         // 000000004D28: D81A0420 0000990B
	ds_write_b32 v11, v154 offset:128                          // 000000004D30: D81A0080 00009A0B
	ds_write_b32 v11, v155 offset:1184                         // 000000004D38: D81A04A0 00009B0B
	ds_write_b32 v11, v156 offset:4352                         // 000000004D40: D81A1100 00009C0B
	ds_write_b32 v11, v157 offset:5408                         // 000000004D48: D81A1520 00009D0B
	ds_write_b32 v11, v158 offset:4480                         // 000000004D50: D81A1180 00009E0B
	ds_write_b32 v11, v159 offset:5536                         // 000000004D58: D81A15A0 00009F0B
	ds_write_b32 v11, v160 offset:8704                         // 000000004D60: D81A2200 0000A00B
	ds_write_b32 v11, v161 offset:9760                         // 000000004D68: D81A2620 0000A10B
	ds_write_b32 v11, v162 offset:8832                         // 000000004D70: D81A2280 0000A20B
	ds_write_b32 v11, v163 offset:9888                         // 000000004D78: D81A26A0 0000A30B
	ds_write_b32 v11, v164 offset:13056                        // 000000004D80: D81A3300 0000A40B
	ds_write_b32 v11, v165 offset:14112                        // 000000004D88: D81A3720 0000A50B
	ds_write_b32 v11, v166 offset:13184                        // 000000004D90: D81A3380 0000A60B
	ds_write_b32 v11, v167 offset:14240                        // 000000004D98: D81A37A0 0000A70B
	buffer_load_dword v152, v248, s[16:19], 0 idxen            // 000000004DA0: E0502000 800498F8
	buffer_load_dword v153, v249, s[16:19], 0 idxen            // 000000004DA8: E0502000 800499F9
	buffer_load_dword v154, v250, s[16:19], 0 idxen            // 000000004DB0: E0502000 80049AFA
	buffer_load_dword v155, v251, s[16:19], 0 idxen            // 000000004DB8: E0502000 80049BFB
	s_mul_i32 s60, 4, s7                                       // 000000004DC0: 923C0784
	s_cmp_lt_i32 0, s72                                        // 000000004DC4: BF044880
	s_cselect_b32 s60, s60, 0                                  // 000000004DC8: 853C803C
	v_add_u32_e32 v248, s60, v248                              // 000000004DCC: 69F1F03C
	v_add_u32_e32 v249, s60, v249                              // 000000004DD0: 69F3F23C
	v_add_u32_e32 v250, s60, v250                              // 000000004DD4: 69F5F43C
	v_add_u32_e32 v251, s60, v251                              // 000000004DD8: 69F7F63C
	buffer_load_dword v156, v248, s[16:19], 0 idxen            // 000000004DDC: E0502000 80049CF8
	buffer_load_dword v157, v249, s[16:19], 0 idxen            // 000000004DE4: E0502000 80049DF9
	buffer_load_dword v158, v250, s[16:19], 0 idxen            // 000000004DEC: E0502000 80049EFA
	buffer_load_dword v159, v251, s[16:19], 0 idxen            // 000000004DF4: E0502000 80049FFB
	s_mul_i32 s60, 4, s7                                       // 000000004DFC: 923C0784
	s_cmp_lt_i32 0, s72                                        // 000000004E00: BF044880
	s_cselect_b32 s60, s60, 0                                  // 000000004E04: 853C803C
	v_add_u32_e32 v248, s60, v248                              // 000000004E08: 69F1F03C
	v_add_u32_e32 v249, s60, v249                              // 000000004E0C: 69F3F23C
	v_add_u32_e32 v250, s60, v250                              // 000000004E10: 69F5F43C
	v_add_u32_e32 v251, s60, v251                              // 000000004E14: 69F7F63C
	buffer_load_dword v160, v248, s[16:19], 0 idxen            // 000000004E18: E0502000 8004A0F8
	buffer_load_dword v161, v249, s[16:19], 0 idxen            // 000000004E20: E0502000 8004A1F9
	buffer_load_dword v162, v250, s[16:19], 0 idxen            // 000000004E28: E0502000 8004A2FA
	buffer_load_dword v163, v251, s[16:19], 0 idxen            // 000000004E30: E0502000 8004A3FB
	s_mul_i32 s60, 4, s7                                       // 000000004E38: 923C0784
	s_cmp_lt_i32 0, s72                                        // 000000004E3C: BF044880
	s_cselect_b32 s60, s60, 0                                  // 000000004E40: 853C803C
	v_add_u32_e32 v248, s60, v248                              // 000000004E44: 69F1F03C
	v_add_u32_e32 v249, s60, v249                              // 000000004E48: 69F3F23C
	v_add_u32_e32 v250, s60, v250                              // 000000004E4C: 69F5F43C
	v_add_u32_e32 v251, s60, v251                              // 000000004E50: 69F7F63C
	buffer_load_dword v164, v248, s[16:19], 0 idxen            // 000000004E54: E0502000 8004A4F8
	buffer_load_dword v165, v249, s[16:19], 0 idxen            // 000000004E5C: E0502000 8004A5F9
	buffer_load_dword v166, v250, s[16:19], 0 idxen            // 000000004E64: E0502000 8004A6FA
	buffer_load_dword v167, v251, s[16:19], 0 idxen            // 000000004E6C: E0502000 8004A7FB
	s_mul_i32 s60, 4, s7                                       // 000000004E74: 923C0784
	s_cmp_lt_i32 1, s72                                        // 000000004E78: BF044881
	s_cselect_b32 s60, s60, 0                                  // 000000004E7C: 853C803C
	v_add_u32_e32 v248, s60, v248                              // 000000004E80: 69F1F03C
	v_add_u32_e32 v249, s60, v249                              // 000000004E84: 69F3F23C
	v_add_u32_e32 v250, s60, v250                              // 000000004E88: 69F5F43C
	v_add_u32_e32 v251, s60, v251                              // 000000004E8C: 69F7F63C
	s_waitcnt lgkmcnt(0)                                       // 000000004E90: BF8CC07F
	s_barrier                                                  // 000000004E94: BF8A0000
	ds_read_b128 a[48:51], v23 offset:17408                    // 000000004E98: DBFE4400 30000017
	ds_read_b128 a[52:55], v23 offset:17664                    // 000000004EA0: DBFE4500 34000017
	ds_read_b128 a[56:59], v23 offset:26112                    // 000000004EA8: DBFE6600 38000017
	ds_read_b128 a[60:63], v23 offset:26368                    // 000000004EB0: DBFE6700 3C000017
	ds_read_b128 a[0:3], v22                                   // 000000004EB8: DBFE0000 00000016
	ds_read_b128 a[4:7], v22 offset:512                        // 000000004EC0: DBFE0200 04000016
	ds_read_b128 a[8:11], v22 offset:2176                      // 000000004EC8: DBFE0880 08000016
	ds_read_b128 a[12:15], v22 offset:2688                     // 000000004ED0: DBFE0A80 0C000016
	s_waitcnt vmcnt(32) lgkmcnt(0)                             // 000000004ED8: BF8C8070
	s_barrier                                                  // 000000004EDC: BF8A0000
	s_cmp_lt_i32 1, s72                                        // 000000004EE0: BF044881
	s_cbranch_scc1 label_044A                                  // 000000004EE4: BF850010
	v_mov_b32_e32 v168, 0                                      // 000000004EE8: 7F500280
	v_mov_b32_e32 v169, 0                                      // 000000004EEC: 7F520280
	v_mov_b32_e32 v170, 0                                      // 000000004EF0: 7F540280
	v_mov_b32_e32 v171, 0                                      // 000000004EF4: 7F560280
	v_mov_b32_e32 v172, 0                                      // 000000004EF8: 7F580280
	v_mov_b32_e32 v173, 0                                      // 000000004EFC: 7F5A0280
	v_mov_b32_e32 v174, 0                                      // 000000004F00: 7F5C0280
	v_mov_b32_e32 v175, 0                                      // 000000004F04: 7F5E0280
	v_mov_b32_e32 v176, 0                                      // 000000004F08: 7F600280
	v_mov_b32_e32 v177, 0                                      // 000000004F0C: 7F620280
	v_mov_b32_e32 v178, 0                                      // 000000004F10: 7F640280
	v_mov_b32_e32 v179, 0                                      // 000000004F14: 7F660280
	v_mov_b32_e32 v180, 0                                      // 000000004F18: 7F680280
	v_mov_b32_e32 v181, 0                                      // 000000004F1C: 7F6A0280
	v_mov_b32_e32 v182, 0                                      // 000000004F20: 7F6C0280
	v_mov_b32_e32 v183, 0                                      // 000000004F24: 7F6E0280

0000000000004f28 <label_044A>:
	v_perm_b32 v200, v169, v168, s63                           // 000000004F28: D1ED00C8 00FF51A9
	v_perm_b32 v201, v169, v168, s64                           // 000000004F30: D1ED00C9 010351A9
	v_perm_b32 v202, v171, v170, s63                           // 000000004F38: D1ED00CA 00FF55AB
	v_perm_b32 v203, v171, v170, s64                           // 000000004F40: D1ED00CB 010355AB
	v_perm_b32 v204, v173, v172, s63                           // 000000004F48: D1ED00CC 00FF59AD
	v_perm_b32 v205, v173, v172, s64                           // 000000004F50: D1ED00CD 010359AD
	v_perm_b32 v206, v175, v174, s63                           // 000000004F58: D1ED00CE 00FF5DAF
	v_perm_b32 v207, v175, v174, s64                           // 000000004F60: D1ED00CF 01035DAF
	v_perm_b32 v208, v177, v176, s63                           // 000000004F68: D1ED00D0 00FF61B1
	v_perm_b32 v209, v177, v176, s64                           // 000000004F70: D1ED00D1 010361B1
	v_perm_b32 v210, v179, v178, s63                           // 000000004F78: D1ED00D2 00FF65B3
	v_perm_b32 v211, v179, v178, s64                           // 000000004F80: D1ED00D3 010365B3
	v_perm_b32 v212, v181, v180, s63                           // 000000004F88: D1ED00D4 00FF69B5
	v_perm_b32 v213, v181, v180, s64                           // 000000004F90: D1ED00D5 010369B5
	v_perm_b32 v214, v183, v182, s63                           // 000000004F98: D1ED00D6 00FF6DB7
	v_perm_b32 v215, v183, v182, s64                           // 000000004FA0: D1ED00D7 01036DB7
	ds_write_b32 v13, v200 offset:17408                        // 000000004FA8: D81A4400 0000C80D
	ds_write_b32 v13, v201 offset:18464                        // 000000004FB0: D81A4820 0000C90D
	ds_write_b32 v13, v202 offset:17536                        // 000000004FB8: D81A4480 0000CA0D
	ds_write_b32 v13, v203 offset:18592                        // 000000004FC0: D81A48A0 0000CB0D
	ds_write_b32 v13, v204 offset:21760                        // 000000004FC8: D81A5500 0000CC0D
	ds_write_b32 v13, v205 offset:22816                        // 000000004FD0: D81A5920 0000CD0D
	ds_write_b32 v13, v206 offset:21888                        // 000000004FD8: D81A5580 0000CE0D
	ds_write_b32 v13, v207 offset:22944                        // 000000004FE0: D81A59A0 0000CF0D
	ds_write_b32 v13, v208 offset:26112                        // 000000004FE8: D81A6600 0000D00D
	ds_write_b32 v13, v209 offset:27168                        // 000000004FF0: D81A6A20 0000D10D
	ds_write_b32 v13, v210 offset:26240                        // 000000004FF8: D81A6680 0000D20D
	ds_write_b32 v13, v211 offset:27296                        // 000000005000: D81A6AA0 0000D30D
	ds_write_b32 v13, v212 offset:30464                        // 000000005008: D81A7700 0000D40D
	ds_write_b32 v13, v213 offset:31520                        // 000000005010: D81A7B20 0000D50D
	ds_write_b32 v13, v214 offset:30592                        // 000000005018: D81A7780 0000D60D
	ds_write_b32 v13, v215 offset:31648                        // 000000005020: D81A7BA0 0000D70D
	ds_write_b32 v11, v168                                     // 000000005028: D81A0000 0000A80B
	ds_write_b32 v11, v169 offset:1056                         // 000000005030: D81A0420 0000A90B
	ds_write_b32 v11, v170 offset:128                          // 000000005038: D81A0080 0000AA0B
	ds_write_b32 v11, v171 offset:1184                         // 000000005040: D81A04A0 0000AB0B
	ds_write_b32 v11, v172 offset:4352                         // 000000005048: D81A1100 0000AC0B
	ds_write_b32 v11, v173 offset:5408                         // 000000005050: D81A1520 0000AD0B
	ds_write_b32 v11, v174 offset:4480                         // 000000005058: D81A1180 0000AE0B
	ds_write_b32 v11, v175 offset:5536                         // 000000005060: D81A15A0 0000AF0B
	ds_write_b32 v11, v176 offset:8704                         // 000000005068: D81A2200 0000B00B
	ds_write_b32 v11, v177 offset:9760                         // 000000005070: D81A2620 0000B10B
	ds_write_b32 v11, v178 offset:8832                         // 000000005078: D81A2280 0000B20B
	ds_write_b32 v11, v179 offset:9888                         // 000000005080: D81A26A0 0000B30B
	ds_write_b32 v11, v180 offset:13056                        // 000000005088: D81A3300 0000B40B
	ds_write_b32 v11, v181 offset:14112                        // 000000005090: D81A3720 0000B50B
	ds_write_b32 v11, v182 offset:13184                        // 000000005098: D81A3380 0000B60B
	ds_write_b32 v11, v183 offset:14240                        // 0000000050A0: D81A37A0 0000B70B
	buffer_load_dword v168, v248, s[16:19], 0 idxen            // 0000000050A8: E0502000 8004A8F8
	buffer_load_dword v169, v249, s[16:19], 0 idxen            // 0000000050B0: E0502000 8004A9F9
	buffer_load_dword v170, v250, s[16:19], 0 idxen            // 0000000050B8: E0502000 8004AAFA
	buffer_load_dword v171, v251, s[16:19], 0 idxen            // 0000000050C0: E0502000 8004ABFB
	s_mul_i32 s60, 4, s7                                       // 0000000050C8: 923C0784
	s_cmp_lt_i32 1, s72                                        // 0000000050CC: BF044881
	s_cselect_b32 s60, s60, 0                                  // 0000000050D0: 853C803C
	v_add_u32_e32 v248, s60, v248                              // 0000000050D4: 69F1F03C
	v_add_u32_e32 v249, s60, v249                              // 0000000050D8: 69F3F23C
	v_add_u32_e32 v250, s60, v250                              // 0000000050DC: 69F5F43C
	v_add_u32_e32 v251, s60, v251                              // 0000000050E0: 69F7F63C
	buffer_load_dword v172, v248, s[16:19], 0 idxen            // 0000000050E4: E0502000 8004ACF8
	buffer_load_dword v173, v249, s[16:19], 0 idxen            // 0000000050EC: E0502000 8004ADF9
	buffer_load_dword v174, v250, s[16:19], 0 idxen            // 0000000050F4: E0502000 8004AEFA
	buffer_load_dword v175, v251, s[16:19], 0 idxen            // 0000000050FC: E0502000 8004AFFB
	s_mul_i32 s60, 4, s7                                       // 000000005104: 923C0784
	s_cmp_lt_i32 1, s72                                        // 000000005108: BF044881
	s_cselect_b32 s60, s60, 0                                  // 00000000510C: 853C803C
	v_add_u32_e32 v248, s60, v248                              // 000000005110: 69F1F03C
	v_add_u32_e32 v249, s60, v249                              // 000000005114: 69F3F23C
	v_add_u32_e32 v250, s60, v250                              // 000000005118: 69F5F43C
	v_add_u32_e32 v251, s60, v251                              // 00000000511C: 69F7F63C
	buffer_load_dword v176, v248, s[16:19], 0 idxen            // 000000005120: E0502000 8004B0F8
	buffer_load_dword v177, v249, s[16:19], 0 idxen            // 000000005128: E0502000 8004B1F9
	buffer_load_dword v178, v250, s[16:19], 0 idxen            // 000000005130: E0502000 8004B2FA
	buffer_load_dword v179, v251, s[16:19], 0 idxen            // 000000005138: E0502000 8004B3FB
	s_mul_i32 s60, 4, s7                                       // 000000005140: 923C0784
	s_cmp_lt_i32 1, s72                                        // 000000005144: BF044881
	s_cselect_b32 s60, s60, 0                                  // 000000005148: 853C803C
	v_add_u32_e32 v248, s60, v248                              // 00000000514C: 69F1F03C
	v_add_u32_e32 v249, s60, v249                              // 000000005150: 69F3F23C
	v_add_u32_e32 v250, s60, v250                              // 000000005154: 69F5F43C
	v_add_u32_e32 v251, s60, v251                              // 000000005158: 69F7F63C
	buffer_load_dword v180, v248, s[16:19], 0 idxen            // 00000000515C: E0502000 8004B4F8
	buffer_load_dword v181, v249, s[16:19], 0 idxen            // 000000005164: E0502000 8004B5F9
	buffer_load_dword v182, v250, s[16:19], 0 idxen            // 00000000516C: E0502000 8004B6FA
	buffer_load_dword v183, v251, s[16:19], 0 idxen            // 000000005174: E0502000 8004B7FB
	s_mul_i32 s60, 4, s7                                       // 00000000517C: 923C0784
	s_cmp_lt_i32 2, s72                                        // 000000005180: BF044882
	s_cselect_b32 s60, s60, 0                                  // 000000005184: 853C803C
	v_add_u32_e32 v248, s60, v248                              // 000000005188: 69F1F03C
	v_add_u32_e32 v249, s60, v249                              // 00000000518C: 69F3F23C
	v_add_u32_e32 v250, s60, v250                              // 000000005190: 69F5F43C
	v_add_u32_e32 v251, s60, v251                              // 000000005194: 69F7F63C
	s_waitcnt lgkmcnt(0)                                       // 000000005198: BF8CC07F
	s_barrier                                                  // 00000000519C: BF8A0000
	ds_read_b128 a[64:67], v23 offset:17408                    // 0000000051A0: DBFE4400 40000017
	ds_read_b128 a[68:71], v23 offset:17664                    // 0000000051A8: DBFE4500 44000017
	ds_read_b128 a[72:75], v23 offset:26112                    // 0000000051B0: DBFE6600 48000017
	ds_read_b128 a[76:79], v23 offset:26368                    // 0000000051B8: DBFE6700 4C000017
	ds_read_b128 a[16:19], v22                                 // 0000000051C0: DBFE0000 10000016
	ds_read_b128 a[20:23], v22 offset:512                      // 0000000051C8: DBFE0200 14000016
	ds_read_b128 a[24:27], v22 offset:2176                     // 0000000051D0: DBFE0880 18000016
	ds_read_b128 a[28:31], v22 offset:2688                     // 0000000051D8: DBFE0A80 1C000016
	s_waitcnt vmcnt(32) lgkmcnt(0)                             // 0000000051E0: BF8C8070
	s_barrier                                                  // 0000000051E4: BF8A0000
	s_cmp_lt_i32 2, s72                                        // 0000000051E8: BF044882
	s_cbranch_scc1 label_050C                                  // 0000000051EC: BF850010
	v_mov_b32_e32 v184, 0                                      // 0000000051F0: 7F700280
	v_mov_b32_e32 v185, 0                                      // 0000000051F4: 7F720280
	v_mov_b32_e32 v186, 0                                      // 0000000051F8: 7F740280
	v_mov_b32_e32 v187, 0                                      // 0000000051FC: 7F760280
	v_mov_b32_e32 v188, 0                                      // 000000005200: 7F780280
	v_mov_b32_e32 v189, 0                                      // 000000005204: 7F7A0280
	v_mov_b32_e32 v190, 0                                      // 000000005208: 7F7C0280
	v_mov_b32_e32 v191, 0                                      // 00000000520C: 7F7E0280
	v_mov_b32_e32 v192, 0                                      // 000000005210: 7F800280
	v_mov_b32_e32 v193, 0                                      // 000000005214: 7F820280
	v_mov_b32_e32 v194, 0                                      // 000000005218: 7F840280
	v_mov_b32_e32 v195, 0                                      // 00000000521C: 7F860280
	v_mov_b32_e32 v196, 0                                      // 000000005220: 7F880280
	v_mov_b32_e32 v197, 0                                      // 000000005224: 7F8A0280
	v_mov_b32_e32 v198, 0                                      // 000000005228: 7F8C0280
	v_mov_b32_e32 v199, 0                                      // 00000000522C: 7F8E0280

0000000000005230 <label_050C>:
	v_perm_b32 v200, v185, v184, s63                           // 000000005230: D1ED00C8 00FF71B9
	v_perm_b32 v201, v185, v184, s64                           // 000000005238: D1ED00C9 010371B9
	v_perm_b32 v202, v187, v186, s63                           // 000000005240: D1ED00CA 00FF75BB
	v_perm_b32 v203, v187, v186, s64                           // 000000005248: D1ED00CB 010375BB
	v_perm_b32 v204, v189, v188, s63                           // 000000005250: D1ED00CC 00FF79BD
	v_perm_b32 v205, v189, v188, s64                           // 000000005258: D1ED00CD 010379BD
	v_perm_b32 v206, v191, v190, s63                           // 000000005260: D1ED00CE 00FF7DBF
	v_perm_b32 v207, v191, v190, s64                           // 000000005268: D1ED00CF 01037DBF
	v_perm_b32 v208, v193, v192, s63                           // 000000005270: D1ED00D0 00FF81C1
	v_perm_b32 v209, v193, v192, s64                           // 000000005278: D1ED00D1 010381C1
	v_perm_b32 v210, v195, v194, s63                           // 000000005280: D1ED00D2 00FF85C3
	v_perm_b32 v211, v195, v194, s64                           // 000000005288: D1ED00D3 010385C3
	v_perm_b32 v212, v197, v196, s63                           // 000000005290: D1ED00D4 00FF89C5
	v_perm_b32 v213, v197, v196, s64                           // 000000005298: D1ED00D5 010389C5
	v_perm_b32 v214, v199, v198, s63                           // 0000000052A0: D1ED00D6 00FF8DC7
	v_perm_b32 v215, v199, v198, s64                           // 0000000052A8: D1ED00D7 01038DC7
	ds_write_b32 v13, v200 offset:17408                        // 0000000052B0: D81A4400 0000C80D
	ds_write_b32 v13, v201 offset:18464                        // 0000000052B8: D81A4820 0000C90D
	ds_write_b32 v13, v202 offset:17536                        // 0000000052C0: D81A4480 0000CA0D
	ds_write_b32 v13, v203 offset:18592                        // 0000000052C8: D81A48A0 0000CB0D
	ds_write_b32 v13, v204 offset:21760                        // 0000000052D0: D81A5500 0000CC0D
	ds_write_b32 v13, v205 offset:22816                        // 0000000052D8: D81A5920 0000CD0D
	ds_write_b32 v13, v206 offset:21888                        // 0000000052E0: D81A5580 0000CE0D
	ds_write_b32 v13, v207 offset:22944                        // 0000000052E8: D81A59A0 0000CF0D
	ds_write_b32 v13, v208 offset:26112                        // 0000000052F0: D81A6600 0000D00D
	ds_write_b32 v13, v209 offset:27168                        // 0000000052F8: D81A6A20 0000D10D
	ds_write_b32 v13, v210 offset:26240                        // 000000005300: D81A6680 0000D20D
	ds_write_b32 v13, v211 offset:27296                        // 000000005308: D81A6AA0 0000D30D
	ds_write_b32 v13, v212 offset:30464                        // 000000005310: D81A7700 0000D40D
	ds_write_b32 v13, v213 offset:31520                        // 000000005318: D81A7B20 0000D50D
	ds_write_b32 v13, v214 offset:30592                        // 000000005320: D81A7780 0000D60D
	ds_write_b32 v13, v215 offset:31648                        // 000000005328: D81A7BA0 0000D70D
	ds_write_b32 v11, v184                                     // 000000005330: D81A0000 0000B80B
	ds_write_b32 v11, v185 offset:1056                         // 000000005338: D81A0420 0000B90B
	ds_write_b32 v11, v186 offset:128                          // 000000005340: D81A0080 0000BA0B
	ds_write_b32 v11, v187 offset:1184                         // 000000005348: D81A04A0 0000BB0B
	ds_write_b32 v11, v188 offset:4352                         // 000000005350: D81A1100 0000BC0B
	ds_write_b32 v11, v189 offset:5408                         // 000000005358: D81A1520 0000BD0B
	ds_write_b32 v11, v190 offset:4480                         // 000000005360: D81A1180 0000BE0B
	ds_write_b32 v11, v191 offset:5536                         // 000000005368: D81A15A0 0000BF0B
	ds_write_b32 v11, v192 offset:8704                         // 000000005370: D81A2200 0000C00B
	ds_write_b32 v11, v193 offset:9760                         // 000000005378: D81A2620 0000C10B
	ds_write_b32 v11, v194 offset:8832                         // 000000005380: D81A2280 0000C20B
	ds_write_b32 v11, v195 offset:9888                         // 000000005388: D81A26A0 0000C30B
	ds_write_b32 v11, v196 offset:13056                        // 000000005390: D81A3300 0000C40B
	ds_write_b32 v11, v197 offset:14112                        // 000000005398: D81A3720 0000C50B
	ds_write_b32 v11, v198 offset:13184                        // 0000000053A0: D81A3380 0000C60B
	ds_write_b32 v11, v199 offset:14240                        // 0000000053A8: D81A37A0 0000C70B
	buffer_load_dword v184, v248, s[16:19], 0 idxen            // 0000000053B0: E0502000 8004B8F8
	buffer_load_dword v185, v249, s[16:19], 0 idxen            // 0000000053B8: E0502000 8004B9F9
	buffer_load_dword v186, v250, s[16:19], 0 idxen            // 0000000053C0: E0502000 8004BAFA
	buffer_load_dword v187, v251, s[16:19], 0 idxen            // 0000000053C8: E0502000 8004BBFB
	s_mul_i32 s60, 4, s7                                       // 0000000053D0: 923C0784
	s_cmp_lt_i32 2, s72                                        // 0000000053D4: BF044882
	s_cselect_b32 s60, s60, 0                                  // 0000000053D8: 853C803C
	v_add_u32_e32 v248, s60, v248                              // 0000000053DC: 69F1F03C
	v_add_u32_e32 v249, s60, v249                              // 0000000053E0: 69F3F23C
	v_add_u32_e32 v250, s60, v250                              // 0000000053E4: 69F5F43C
	v_add_u32_e32 v251, s60, v251                              // 0000000053E8: 69F7F63C
	buffer_load_dword v188, v248, s[16:19], 0 idxen            // 0000000053EC: E0502000 8004BCF8
	buffer_load_dword v189, v249, s[16:19], 0 idxen            // 0000000053F4: E0502000 8004BDF9
	buffer_load_dword v190, v250, s[16:19], 0 idxen            // 0000000053FC: E0502000 8004BEFA
	buffer_load_dword v191, v251, s[16:19], 0 idxen            // 000000005404: E0502000 8004BFFB
	s_mul_i32 s60, 4, s7                                       // 00000000540C: 923C0784
	s_cmp_lt_i32 2, s72                                        // 000000005410: BF044882
	s_cselect_b32 s60, s60, 0                                  // 000000005414: 853C803C
	v_add_u32_e32 v248, s60, v248                              // 000000005418: 69F1F03C
	v_add_u32_e32 v249, s60, v249                              // 00000000541C: 69F3F23C
	v_add_u32_e32 v250, s60, v250                              // 000000005420: 69F5F43C
	v_add_u32_e32 v251, s60, v251                              // 000000005424: 69F7F63C
	buffer_load_dword v192, v248, s[16:19], 0 idxen            // 000000005428: E0502000 8004C0F8
	buffer_load_dword v193, v249, s[16:19], 0 idxen            // 000000005430: E0502000 8004C1F9
	buffer_load_dword v194, v250, s[16:19], 0 idxen            // 000000005438: E0502000 8004C2FA
	buffer_load_dword v195, v251, s[16:19], 0 idxen            // 000000005440: E0502000 8004C3FB
	s_mul_i32 s60, 4, s7                                       // 000000005448: 923C0784
	s_cmp_lt_i32 2, s72                                        // 00000000544C: BF044882
	s_cselect_b32 s60, s60, 0                                  // 000000005450: 853C803C
	v_add_u32_e32 v248, s60, v248                              // 000000005454: 69F1F03C
	v_add_u32_e32 v249, s60, v249                              // 000000005458: 69F3F23C
	v_add_u32_e32 v250, s60, v250                              // 00000000545C: 69F5F43C
	v_add_u32_e32 v251, s60, v251                              // 000000005460: 69F7F63C
	buffer_load_dword v196, v248, s[16:19], 0 idxen            // 000000005464: E0502000 8004C4F8
	buffer_load_dword v197, v249, s[16:19], 0 idxen            // 00000000546C: E0502000 8004C5F9
	buffer_load_dword v198, v250, s[16:19], 0 idxen            // 000000005474: E0502000 8004C6FA
	buffer_load_dword v199, v251, s[16:19], 0 idxen            // 00000000547C: E0502000 8004C7FB
	s_mul_i32 s60, 4, s7                                       // 000000005484: 923C0784
	s_cmp_lt_i32 3, s72                                        // 000000005488: BF044883
	s_cselect_b32 s60, s60, 0                                  // 00000000548C: 853C803C
	v_add_u32_e32 v248, s60, v248                              // 000000005490: 69F1F03C
	v_add_u32_e32 v249, s60, v249                              // 000000005494: 69F3F23C
	v_add_u32_e32 v250, s60, v250                              // 000000005498: 69F5F43C
	v_add_u32_e32 v251, s60, v251                              // 00000000549C: 69F7F63C
	s_waitcnt lgkmcnt(0)                                       // 0000000054A0: BF8CC07F
	s_barrier                                                  // 0000000054A4: BF8A0000
	ds_read_b128 a[80:83], v23 offset:17408                    // 0000000054A8: DBFE4400 50000017
	ds_read_b128 a[84:87], v23 offset:17664                    // 0000000054B0: DBFE4500 54000017
	ds_read_b128 a[88:91], v23 offset:26112                    // 0000000054B8: DBFE6600 58000017
	ds_read_b128 a[92:95], v23 offset:26368                    // 0000000054C0: DBFE6700 5C000017
	ds_read_b128 a[32:35], v22                                 // 0000000054C8: DBFE0000 20000016
	ds_read_b128 a[36:39], v22 offset:512                      // 0000000054D0: DBFE0200 24000016
	ds_read_b128 a[40:43], v22 offset:2176                     // 0000000054D8: DBFE0880 28000016
	ds_read_b128 a[44:47], v22 offset:2688                     // 0000000054E0: DBFE0A80 2C000016
	s_waitcnt vmcnt(32) lgkmcnt(0)                             // 0000000054E8: BF8C8070
	s_barrier                                                  // 0000000054EC: BF8A0000
	s_cmp_lt_i32 0, s72                                        // 0000000054F0: BF044880
	s_cbranch_scc1 label_05CE                                  // 0000000054F4: BF850010
	v_mov_b32_e32 v152, 0                                      // 0000000054F8: 7F300280
	v_mov_b32_e32 v153, 0                                      // 0000000054FC: 7F320280
	v_mov_b32_e32 v154, 0                                      // 000000005500: 7F340280
	v_mov_b32_e32 v155, 0                                      // 000000005504: 7F360280
	v_mov_b32_e32 v156, 0                                      // 000000005508: 7F380280
	v_mov_b32_e32 v157, 0                                      // 00000000550C: 7F3A0280
	v_mov_b32_e32 v158, 0                                      // 000000005510: 7F3C0280
	v_mov_b32_e32 v159, 0                                      // 000000005514: 7F3E0280
	v_mov_b32_e32 v160, 0                                      // 000000005518: 7F400280
	v_mov_b32_e32 v161, 0                                      // 00000000551C: 7F420280
	v_mov_b32_e32 v162, 0                                      // 000000005520: 7F440280
	v_mov_b32_e32 v163, 0                                      // 000000005524: 7F460280
	v_mov_b32_e32 v164, 0                                      // 000000005528: 7F480280
	v_mov_b32_e32 v165, 0                                      // 00000000552C: 7F4A0280
	v_mov_b32_e32 v166, 0                                      // 000000005530: 7F4C0280
	v_mov_b32_e32 v167, 0                                      // 000000005534: 7F4E0280

0000000000005538 <label_05CE>:
	ds_write_b32 v11, v152                                     // 000000005538: D81A0000 0000980B
	ds_write_b32 v11, v153 offset:1056                         // 000000005540: D81A0420 0000990B
	ds_write_b32 v11, v154 offset:128                          // 000000005548: D81A0080 00009A0B
	ds_write_b32 v11, v155 offset:1184                         // 000000005550: D81A04A0 00009B0B
	ds_write_b32 v11, v156 offset:4352                         // 000000005558: D81A1100 00009C0B
	ds_write_b32 v11, v157 offset:5408                         // 000000005560: D81A1520 00009D0B
	ds_write_b32 v11, v158 offset:4480                         // 000000005568: D81A1180 00009E0B
	ds_write_b32 v11, v159 offset:5536                         // 000000005570: D81A15A0 00009F0B
	ds_write_b32 v11, v160 offset:8704                         // 000000005578: D81A2200 0000A00B
	ds_write_b32 v11, v161 offset:9760                         // 000000005580: D81A2620 0000A10B
	ds_write_b32 v11, v162 offset:8832                         // 000000005588: D81A2280 0000A20B
	ds_write_b32 v11, v163 offset:9888                         // 000000005590: D81A26A0 0000A30B
	ds_write_b32 v11, v164 offset:13056                        // 000000005598: D81A3300 0000A40B
	ds_write_b32 v11, v165 offset:14112                        // 0000000055A0: D81A3720 0000A50B
	ds_write_b32 v11, v166 offset:13184                        // 0000000055A8: D81A3380 0000A60B
	ds_write_b32 v11, v167 offset:14240                        // 0000000055B0: D81A37A0 0000A70B
	s_mov_b32 s71, s5                                          // 0000000055B8: BEC70005
	v_lshrrev_b32_e32 v28, 4, v0                               // 0000000055BC: 20380084
	v_and_b32_e32 v29, 1, v28                                  // 0000000055C0: 263A3881
	v_lshlrev_b32_e32 v29, 1, v29                              // 0000000055C4: 243A3A81
	v_mul_i32_i24_e32 v29, s71, v29                            // 0000000055C8: 0C3A3A47
	v_and_b32_e32 v30, 2, v28                                  // 0000000055CC: 263C3882
	v_lshlrev_b32_e32 v30, 5, v30                              // 0000000055D0: 243C3C85
	v_add_u32_e32 v29, v30, v29                                // 0000000055D4: 683A3B1E
	v_and_b32_e32 v28, 15, v0                                  // 0000000055D8: 2638008F
	v_lshlrev_b32_e32 v28, 2, v28                              // 0000000055DC: 24383882
	v_add_u32_e32 v1, v28, v29                                 // 0000000055E0: 68023B1C
	s_and_b32 s60, 1, s46                                      // 0000000055E4: 863C2E81
	s_mul_i32 s60, s60, s71                                    // 0000000055E8: 923C473C
	s_mul_i32 s60, s60, 8                                      // 0000000055EC: 923C883C
	s_lshr_b32 s61, s46, 1                                     // 0000000055F0: 8F3D812E
	s_mul_i32 s61, s61, 0x80                                   // 0000000055F4: 923DFF3D 00000080
	s_add_u32 s60, s60, s61                                    // 0000000055FC: 803C3D3C
	v_add_u32_e32 v1, s60, v1                                  // 000000005600: 6802023C
	v_add_u32_e32 v2, s71, v1                                  // 000000005604: 68040247
	s_mul_i32 s60, 4, s71                                      // 000000005608: 923C4784
	v_add_u32_e32 v3, s60, v1                                  // 00000000560C: 6806023C
	v_add_u32_e32 v4, s60, v2                                  // 000000005610: 6808043C
	s_mov_b32 s71, s51                                         // 000000005614: BEC70033
	v_lshrrev_b32_e32 v28, 4, v0                               // 000000005618: 20380084
	v_and_b32_e32 v29, 1, v28                                  // 00000000561C: 263A3881
	v_lshlrev_b32_e32 v29, 1, v29                              // 000000005620: 243A3A81
	v_mul_i32_i24_e32 v29, s71, v29                            // 000000005624: 0C3A3A47
	v_and_b32_e32 v30, 2, v28                                  // 000000005628: 263C3882
	v_lshlrev_b32_e32 v30, 5, v30                              // 00000000562C: 243C3C85
	v_add_u32_e32 v29, v30, v29                                // 000000005630: 683A3B1E
	v_and_b32_e32 v28, 15, v0                                  // 000000005634: 2638008F
	v_lshlrev_b32_e32 v28, 2, v28                              // 000000005638: 24383882
	v_add_u32_e32 v248, v28, v29                               // 00000000563C: 69F03B1C
	s_and_b32 s60, 1, s46                                      // 000000005640: 863C2E81
	s_mul_i32 s60, s60, s71                                    // 000000005644: 923C473C
	s_mul_i32 s60, s60, 8                                      // 000000005648: 923C883C
	s_lshr_b32 s61, s46, 1                                     // 00000000564C: 8F3D812E
	s_mul_i32 s61, s61, 0x80                                   // 000000005650: 923DFF3D 00000080
	s_add_u32 s60, s60, s61                                    // 000000005658: 803C3D3C
	v_add_u32_e32 v248, s60, v248                              // 00000000565C: 69F1F03C
	v_add_u32_e32 v249, s71, v248                              // 000000005660: 69F3F047
	s_mul_i32 s60, 4, s71                                      // 000000005664: 923C4784
	v_add_u32_e32 v250, s60, v248                              // 000000005668: 69F5F03C
	v_add_u32_e32 v251, s60, v249                              // 00000000566C: 69F7F23C
	v_lshrrev_b32_e32 v1, 2, v1                                // 000000005670: 20020282
	v_lshrrev_b32_e32 v2, 2, v2                                // 000000005674: 20040482
	;; [unrolled: 1-line block ×3, first 2 shown]
	v_lshrrev_b32_e32 v4, 2, v4                                // 00000000567C: 20080882
	v_lshrrev_b32_e32 v248, 2, v248                            // 000000005680: 21F1F082
	v_lshrrev_b32_e32 v249, 2, v249                            // 000000005684: 21F3F282
	v_lshrrev_b32_e32 v250, 2, v250                            // 000000005688: 21F5F482
	v_lshrrev_b32_e32 v251, 2, v251                            // 00000000568C: 21F7F682
	buffer_load_dword v32, v1, s[8:11], 0 idxen                // 000000005690: E0502000 80022001
	buffer_load_dword v33, v2, s[8:11], 0 idxen                // 000000005698: E0502000 80022102
	buffer_load_dword v34, v3, s[8:11], 0 idxen                // 0000000056A0: E0502000 80022203
	buffer_load_dword v35, v4, s[8:11], 0 idxen                // 0000000056A8: E0502000 80022304
	buffer_load_dword v40, v248, s[20:23], 0 idxen             // 0000000056B0: E0502000 800528F8
	buffer_load_dword v41, v249, s[20:23], 0 idxen             // 0000000056B8: E0502000 800529F9
	buffer_load_dword v42, v250, s[20:23], 0 idxen             // 0000000056C0: E0502000 80052AFA
	buffer_load_dword v43, v251, s[20:23], 0 idxen             // 0000000056C8: E0502000 80052BFB
	s_waitcnt lgkmcnt(0)                                       // 0000000056D0: BF8CC07F
	s_barrier                                                  // 0000000056D4: BF8A0000
	ds_read_b128 a[96:99], v22                                 // 0000000056D8: DBFE0000 60000016
	ds_read_b128 a[100:103], v22 offset:512                    // 0000000056E0: DBFE0200 64000016
	ds_read_b128 a[104:107], v22 offset:2176                   // 0000000056E8: DBFE0880 68000016
	ds_read_b128 a[108:111], v22 offset:2688                   // 0000000056F0: DBFE0A80 6C000016
	v_add_u32_e32 v1, s68, v1                                  // 0000000056F8: 68020244
	v_add_u32_e32 v2, s68, v2                                  // 0000000056FC: 68040444
	v_add_u32_e32 v3, s68, v3                                  // 000000005700: 68060644
	v_add_u32_e32 v4, s68, v4                                  // 000000005704: 68080844
	v_add_u32_e32 v248, s100, v248                             // 000000005708: 69F1F064
	v_add_u32_e32 v249, s100, v249                             // 00000000570C: 69F3F264
	v_add_u32_e32 v250, s100, v250                             // 000000005710: 69F5F464
	v_add_u32_e32 v251, s100, v251                             // 000000005714: 69F7F664
	s_waitcnt vmcnt(24) lgkmcnt(0)                             // 000000005718: BF8C4078
	s_barrier                                                  // 00000000571C: BF8A0000
	s_cmp_lt_i32 1, s72                                        // 000000005720: BF044881
	s_cbranch_scc1 label_065A                                  // 000000005724: BF850010
	v_mov_b32_e32 v168, 0                                      // 000000005728: 7F500280
	v_mov_b32_e32 v169, 0                                      // 00000000572C: 7F520280
	v_mov_b32_e32 v170, 0                                      // 000000005730: 7F540280
	v_mov_b32_e32 v171, 0                                      // 000000005734: 7F560280
	v_mov_b32_e32 v172, 0                                      // 000000005738: 7F580280
	v_mov_b32_e32 v173, 0                                      // 00000000573C: 7F5A0280
	v_mov_b32_e32 v174, 0                                      // 000000005740: 7F5C0280
	v_mov_b32_e32 v175, 0                                      // 000000005744: 7F5E0280
	v_mov_b32_e32 v176, 0                                      // 000000005748: 7F600280
	v_mov_b32_e32 v177, 0                                      // 00000000574C: 7F620280
	v_mov_b32_e32 v178, 0                                      // 000000005750: 7F640280
	v_mov_b32_e32 v179, 0                                      // 000000005754: 7F660280
	v_mov_b32_e32 v180, 0                                      // 000000005758: 7F680280
	v_mov_b32_e32 v181, 0                                      // 00000000575C: 7F6A0280
	v_mov_b32_e32 v182, 0                                      // 000000005760: 7F6C0280
	v_mov_b32_e32 v183, 0                                      // 000000005764: 7F6E0280

0000000000005768 <label_065A>:
	ds_write_b32 v11, v168                                     // 000000005768: D81A0000 0000A80B
	ds_write_b32 v11, v169 offset:1056                         // 000000005770: D81A0420 0000A90B
	ds_write_b32 v11, v170 offset:128                          // 000000005778: D81A0080 0000AA0B
	ds_write_b32 v11, v171 offset:1184                         // 000000005780: D81A04A0 0000AB0B
	ds_write_b32 v11, v172 offset:4352                         // 000000005788: D81A1100 0000AC0B
	ds_write_b32 v11, v173 offset:5408                         // 000000005790: D81A1520 0000AD0B
	ds_write_b32 v11, v174 offset:4480                         // 000000005798: D81A1180 0000AE0B
	ds_write_b32 v11, v175 offset:5536                         // 0000000057A0: D81A15A0 0000AF0B
	ds_write_b32 v11, v176 offset:8704                         // 0000000057A8: D81A2200 0000B00B
	ds_write_b32 v11, v177 offset:9760                         // 0000000057B0: D81A2620 0000B10B
	ds_write_b32 v11, v178 offset:8832                         // 0000000057B8: D81A2280 0000B20B
	ds_write_b32 v11, v179 offset:9888                         // 0000000057C0: D81A26A0 0000B30B
	ds_write_b32 v11, v180 offset:13056                        // 0000000057C8: D81A3300 0000B40B
	ds_write_b32 v11, v181 offset:14112                        // 0000000057D0: D81A3720 0000B50B
	ds_write_b32 v11, v182 offset:13184                        // 0000000057D8: D81A3380 0000B60B
	ds_write_b32 v11, v183 offset:14240                        // 0000000057E0: D81A37A0 0000B70B
	buffer_load_dword v36, v1, s[8:11], 0 idxen                // 0000000057E8: E0502000 80022401
	buffer_load_dword v37, v2, s[8:11], 0 idxen                // 0000000057F0: E0502000 80022502
	buffer_load_dword v38, v3, s[8:11], 0 idxen                // 0000000057F8: E0502000 80022603
	buffer_load_dword v39, v4, s[8:11], 0 idxen                // 000000005800: E0502000 80022704
	buffer_load_dword v44, v248, s[20:23], 0 idxen             // 000000005808: E0502000 80052CF8
	buffer_load_dword v45, v249, s[20:23], 0 idxen             // 000000005810: E0502000 80052DF9
	buffer_load_dword v46, v250, s[20:23], 0 idxen             // 000000005818: E0502000 80052EFA
	buffer_load_dword v47, v251, s[20:23], 0 idxen             // 000000005820: E0502000 80052FFB
	s_waitcnt lgkmcnt(0)                                       // 000000005828: BF8CC07F
	s_barrier                                                  // 00000000582C: BF8A0000
	ds_read_b128 a[112:115], v22                               // 000000005830: DBFE0000 70000016
	ds_read_b128 a[116:119], v22 offset:512                    // 000000005838: DBFE0200 74000016
	ds_read_b128 a[120:123], v22 offset:2176                   // 000000005840: DBFE0880 78000016
	ds_read_b128 a[124:127], v22 offset:2688                   // 000000005848: DBFE0A80 7C000016
	v_add_u32_e32 v1, s68, v1                                  // 000000005850: 68020244
	v_add_u32_e32 v2, s68, v2                                  // 000000005854: 68040444
	;; [unrolled: 1-line block ×3, first 2 shown]
	v_add_u32_e32 v4, s68, v4                                  // 00000000585C: 68080844
	v_add_u32_e32 v248, s100, v248                             // 000000005860: 69F1F064
	v_add_u32_e32 v249, s100, v249                             // 000000005864: 69F3F264
	v_add_u32_e32 v250, s100, v250                             // 000000005868: 69F5F464
	v_add_u32_e32 v251, s100, v251                             // 00000000586C: 69F7F664
	s_waitcnt vmcnt(16) lgkmcnt(0)                             // 000000005870: BF8C4070
	s_barrier                                                  // 000000005874: BF8A0000
	s_cmp_lt_i32 2, s72                                        // 000000005878: BF044882
	s_cbranch_scc1 label_06B0                                  // 00000000587C: BF850010
	v_mov_b32_e32 v184, 0                                      // 000000005880: 7F700280
	v_mov_b32_e32 v185, 0                                      // 000000005884: 7F720280
	v_mov_b32_e32 v186, 0                                      // 000000005888: 7F740280
	v_mov_b32_e32 v187, 0                                      // 00000000588C: 7F760280
	v_mov_b32_e32 v188, 0                                      // 000000005890: 7F780280
	v_mov_b32_e32 v189, 0                                      // 000000005894: 7F7A0280
	v_mov_b32_e32 v190, 0                                      // 000000005898: 7F7C0280
	v_mov_b32_e32 v191, 0                                      // 00000000589C: 7F7E0280
	v_mov_b32_e32 v192, 0                                      // 0000000058A0: 7F800280
	v_mov_b32_e32 v193, 0                                      // 0000000058A4: 7F820280
	v_mov_b32_e32 v194, 0                                      // 0000000058A8: 7F840280
	v_mov_b32_e32 v195, 0                                      // 0000000058AC: 7F860280
	v_mov_b32_e32 v196, 0                                      // 0000000058B0: 7F880280
	v_mov_b32_e32 v197, 0                                      // 0000000058B4: 7F8A0280
	v_mov_b32_e32 v198, 0                                      // 0000000058B8: 7F8C0280
	v_mov_b32_e32 v199, 0                                      // 0000000058BC: 7F8E0280

00000000000058c0 <label_06B0>:
	ds_write_b32 v11, v184                                     // 0000000058C0: D81A0000 0000B80B
	ds_write_b32 v11, v185 offset:1056                         // 0000000058C8: D81A0420 0000B90B
	ds_write_b32 v11, v186 offset:128                          // 0000000058D0: D81A0080 0000BA0B
	ds_write_b32 v11, v187 offset:1184                         // 0000000058D8: D81A04A0 0000BB0B
	ds_write_b32 v11, v188 offset:4352                         // 0000000058E0: D81A1100 0000BC0B
	ds_write_b32 v11, v189 offset:5408                         // 0000000058E8: D81A1520 0000BD0B
	ds_write_b32 v11, v190 offset:4480                         // 0000000058F0: D81A1180 0000BE0B
	ds_write_b32 v11, v191 offset:5536                         // 0000000058F8: D81A15A0 0000BF0B
	ds_write_b32 v11, v192 offset:8704                         // 000000005900: D81A2200 0000C00B
	ds_write_b32 v11, v193 offset:9760                         // 000000005908: D81A2620 0000C10B
	ds_write_b32 v11, v194 offset:8832                         // 000000005910: D81A2280 0000C20B
	ds_write_b32 v11, v195 offset:9888                         // 000000005918: D81A26A0 0000C30B
	ds_write_b32 v11, v196 offset:13056                        // 000000005920: D81A3300 0000C40B
	ds_write_b32 v11, v197 offset:14112                        // 000000005928: D81A3720 0000C50B
	ds_write_b32 v11, v198 offset:13184                        // 000000005930: D81A3380 0000C60B
	ds_write_b32 v11, v199 offset:14240                        // 000000005938: D81A37A0 0000C70B
	s_waitcnt lgkmcnt(0)                                       // 000000005940: BF8CC07F
	s_barrier                                                  // 000000005944: BF8A0000
	ds_read_b128 a[128:131], v22                               // 000000005948: DBFE0000 80000016
	ds_read_b128 a[132:135], v22 offset:512                    // 000000005950: DBFE0200 84000016
	ds_read_b128 a[136:139], v22 offset:2176                   // 000000005958: DBFE0880 88000016
	ds_read_b128 a[140:143], v22 offset:2688                   // 000000005960: DBFE0A80 8C000016
	s_waitcnt vmcnt(8) lgkmcnt(0)                              // 000000005968: BF8C0078
	s_barrier                                                  // 00000000596C: BF8A0000
	buffer_load_dword v9, s[24:27], 0 idxen lds                // 000000005970: E0512000 80060009
	s_mov_b32 m0, s79                                          // 000000005978: BEFC004F
	v_add_u32_e32 v9, s69, v9                                  // 00000000597C: 68121245
	v_perm_b32 v84, v33, v32, s63                              // 000000005980: D1ED0054 00FE4121
	v_perm_b32 v85, v33, v32, s64                              // 000000005988: D1ED0055 01024121
	v_perm_b32 v86, v35, v34, s63                              // 000000005990: D1ED0056 00FE4523
	v_perm_b32 v87, v35, v34, s64                              // 000000005998: D1ED0057 01024523
	ds_write_b32 v13, v84 offset:4352                          // 0000000059A0: D81A1100 0000540D
	ds_write_b32 v13, v85 offset:5408                          // 0000000059A8: D81A1520 0000550D
	ds_write_b32 v13, v86 offset:4480                          // 0000000059B0: D81A1180 0000560D
	ds_write_b32 v13, v87 offset:5536                          // 0000000059B8: D81A15A0 0000570D
	ds_write_b32 v11, v32                                      // 0000000059C0: D81A0000 0000200B
	ds_write_b32 v11, v33 offset:1056                          // 0000000059C8: D81A0420 0000210B
	ds_write_b32 v11, v34 offset:128                           // 0000000059D0: D81A0080 0000220B
	ds_write_b32 v11, v35 offset:1184                          // 0000000059D8: D81A04A0 0000230B
	buffer_load_dword v9, s[24:27], 0 idxen lds                // 0000000059E0: E0512000 80060009
	s_mov_b32 m0, s78                                          // 0000000059E8: BEFC004E
	v_add_u32_e32 v9, s69, v9                                  // 0000000059EC: 68121245
	v_perm_b32 v88, v41, v40, s63                              // 0000000059F0: D1ED0058 00FE5129
	v_perm_b32 v89, v41, v40, s64                              // 0000000059F8: D1ED0059 01025129
	v_perm_b32 v90, v43, v42, s63                              // 000000005A00: D1ED005A 00FE552B
	v_perm_b32 v91, v43, v42, s64                              // 000000005A08: D1ED005B 0102552B
	ds_write_b32 v13, v88 offset:13056                         // 000000005A10: D81A3300 0000580D
	ds_write_b32 v13, v89 offset:14112                         // 000000005A18: D81A3720 0000590D
	ds_write_b32 v13, v90 offset:13184                         // 000000005A20: D81A3380 00005A0D
	ds_write_b32 v13, v91 offset:14240                         // 000000005A28: D81A37A0 00005B0D
	ds_write_b32 v11, v40 offset:8704                          // 000000005A30: D81A2200 0000280B
	ds_write_b32 v11, v41 offset:9760                          // 000000005A38: D81A2620 0000290B
	ds_write_b32 v11, v42 offset:8832                          // 000000005A40: D81A2280 00002A0B
	ds_write_b32 v11, v43 offset:9888                          // 000000005A48: D81A26A0 00002B0B
	s_waitcnt vmcnt(1) lgkmcnt(0)                              // 000000005A50: BF8C0071
	s_barrier                                                  // 000000005A54: BF8A0000
	ds_read_b128 a[144:147], v10                               // 000000005A58: DBFE0000 9000000A
	ds_read_b128 a[148:151], v10 offset:512                    // 000000005A60: DBFE0200 9400000A
	ds_read_b128 a[152:155], v10 offset:2176                   // 000000005A68: DBFE0880 9800000A
	ds_read_b128 a[156:159], v10 offset:2688                   // 000000005A70: DBFE0A80 9C00000A
	ds_read_b128 v[92:95], v10 offset:8704                     // 000000005A78: D9FE2200 5C00000A
	ds_read_b128 v[96:99], v10 offset:9216                     // 000000005A80: D9FE2400 6000000A
	ds_read_b128 v[100:103], v10 offset:10880                  // 000000005A88: D9FE2A80 6400000A
	ds_read_b128 v[104:107], v10 offset:11392                  // 000000005A90: D9FE2C80 6800000A
	ds_read_b32 v124, v21 offset:50688                         // 000000005A98: D86CC600 7C000015
	ds_read_b32 v150, v21 offset:50944                         // 000000005AA0: D86CC700 96000015
	v_accvgpr_write_b32 a160, 0                                // 000000005AA8: D3D940A0 18000080
	v_mov_b32_e32 v152, 0                                      // 000000005AB0: 7F300280
	v_accvgpr_write_b32 a161, 0                                // 000000005AB4: D3D940A1 18000080
	v_mov_b32_e32 v153, 0                                      // 000000005ABC: 7F320280
	v_accvgpr_write_b32 a162, 0                                // 000000005AC0: D3D940A2 18000080
	v_mov_b32_e32 v154, 0                                      // 000000005AC8: 7F340280
	v_accvgpr_write_b32 a163, 0                                // 000000005ACC: D3D940A3 18000080
	v_mov_b32_e32 v155, 0                                      // 000000005AD4: 7F360280
	v_accvgpr_write_b32 a164, 0                                // 000000005AD8: D3D940A4 18000080
	v_mov_b32_e32 v156, 0                                      // 000000005AE0: 7F380280
	v_accvgpr_write_b32 a165, 0                                // 000000005AE4: D3D940A5 18000080
	v_mov_b32_e32 v157, 0                                      // 000000005AEC: 7F3A0280
	v_accvgpr_write_b32 a166, 0                                // 000000005AF0: D3D940A6 18000080
	v_mov_b32_e32 v158, 0                                      // 000000005AF8: 7F3C0280
	v_accvgpr_write_b32 a167, 0                                // 000000005AFC: D3D940A7 18000080
	v_mov_b32_e32 v159, 0                                      // 000000005B04: 7F3E0280
	v_accvgpr_write_b32 a168, 0                                // 000000005B08: D3D940A8 18000080
	v_mov_b32_e32 v160, 0                                      // 000000005B10: 7F400280
	v_accvgpr_write_b32 a169, 0                                // 000000005B14: D3D940A9 18000080
	v_mov_b32_e32 v161, 0                                      // 000000005B1C: 7F420280
	v_accvgpr_write_b32 a170, 0                                // 000000005B20: D3D940AA 18000080
	v_mov_b32_e32 v162, 0                                      // 000000005B28: 7F440280
	v_accvgpr_write_b32 a171, 0                                // 000000005B2C: D3D940AB 18000080
	v_mov_b32_e32 v163, 0                                      // 000000005B34: 7F460280
	v_accvgpr_write_b32 a172, 0                                // 000000005B38: D3D940AC 18000080
	v_mov_b32_e32 v164, 0                                      // 000000005B40: 7F480280
	v_accvgpr_write_b32 a173, 0                                // 000000005B44: D3D940AD 18000080
	v_mov_b32_e32 v165, 0                                      // 000000005B4C: 7F4A0280
	v_accvgpr_write_b32 a174, 0                                // 000000005B50: D3D940AE 18000080
	v_mov_b32_e32 v166, 0                                      // 000000005B58: 7F4C0280
	v_accvgpr_write_b32 a175, 0                                // 000000005B5C: D3D940AF 18000080
	v_mov_b32_e32 v167, 0                                      // 000000005B64: 7F4E0280
	v_accvgpr_write_b32 a176, 0                                // 000000005B68: D3D940B0 18000080
	v_mov_b32_e32 v168, 0                                      // 000000005B70: 7F500280
	v_accvgpr_write_b32 a177, 0                                // 000000005B74: D3D940B1 18000080
	v_mov_b32_e32 v169, 0                                      // 000000005B7C: 7F520280
	v_accvgpr_write_b32 a178, 0                                // 000000005B80: D3D940B2 18000080
	v_mov_b32_e32 v170, 0                                      // 000000005B88: 7F540280
	v_accvgpr_write_b32 a179, 0                                // 000000005B8C: D3D940B3 18000080
	v_mov_b32_e32 v171, 0                                      // 000000005B94: 7F560280
	v_accvgpr_write_b32 a180, 0                                // 000000005B98: D3D940B4 18000080
	v_mov_b32_e32 v172, 0                                      // 000000005BA0: 7F580280
	v_accvgpr_write_b32 a181, 0                                // 000000005BA4: D3D940B5 18000080
	v_mov_b32_e32 v173, 0                                      // 000000005BAC: 7F5A0280
	v_accvgpr_write_b32 a182, 0                                // 000000005BB0: D3D940B6 18000080
	v_mov_b32_e32 v174, 0                                      // 000000005BB8: 7F5C0280
	v_accvgpr_write_b32 a183, 0                                // 000000005BBC: D3D940B7 18000080
	v_mov_b32_e32 v175, 0                                      // 000000005BC4: 7F5E0280
	v_accvgpr_write_b32 a184, 0                                // 000000005BC8: D3D940B8 18000080
	v_mov_b32_e32 v176, 0                                      // 000000005BD0: 7F600280
	v_accvgpr_write_b32 a185, 0                                // 000000005BD4: D3D940B9 18000080
	v_mov_b32_e32 v177, 0                                      // 000000005BDC: 7F620280
	v_accvgpr_write_b32 a186, 0                                // 000000005BE0: D3D940BA 18000080
	v_mov_b32_e32 v178, 0                                      // 000000005BE8: 7F640280
	v_accvgpr_write_b32 a187, 0                                // 000000005BEC: D3D940BB 18000080
	v_mov_b32_e32 v179, 0                                      // 000000005BF4: 7F660280
	v_accvgpr_write_b32 a188, 0                                // 000000005BF8: D3D940BC 18000080
	v_mov_b32_e32 v180, 0                                      // 000000005C00: 7F680280
	v_accvgpr_write_b32 a189, 0                                // 000000005C04: D3D940BD 18000080
	v_mov_b32_e32 v181, 0                                      // 000000005C0C: 7F6A0280
	v_accvgpr_write_b32 a190, 0                                // 000000005C10: D3D940BE 18000080
	v_mov_b32_e32 v182, 0                                      // 000000005C18: 7F6C0280
	v_accvgpr_write_b32 a191, 0                                // 000000005C1C: D3D940BF 18000080
	v_mov_b32_e32 v183, 0                                      // 000000005C24: 7F6E0280
	v_accvgpr_write_b32 a192, 0                                // 000000005C28: D3D940C0 18000080
	v_mov_b32_e32 v184, 0                                      // 000000005C30: 7F700280
	v_accvgpr_write_b32 a193, 0                                // 000000005C34: D3D940C1 18000080
	v_mov_b32_e32 v185, 0                                      // 000000005C3C: 7F720280
	v_accvgpr_write_b32 a194, 0                                // 000000005C40: D3D940C2 18000080
	v_mov_b32_e32 v186, 0                                      // 000000005C48: 7F740280
	v_accvgpr_write_b32 a195, 0                                // 000000005C4C: D3D940C3 18000080
	v_mov_b32_e32 v187, 0                                      // 000000005C54: 7F760280
	v_accvgpr_write_b32 a196, 0                                // 000000005C58: D3D940C4 18000080
	v_mov_b32_e32 v188, 0                                      // 000000005C60: 7F780280
	v_accvgpr_write_b32 a197, 0                                // 000000005C64: D3D940C5 18000080
	v_mov_b32_e32 v189, 0                                      // 000000005C6C: 7F7A0280
	v_accvgpr_write_b32 a198, 0                                // 000000005C70: D3D940C6 18000080
	v_mov_b32_e32 v190, 0                                      // 000000005C78: 7F7C0280
	v_accvgpr_write_b32 a199, 0                                // 000000005C7C: D3D940C7 18000080
	v_mov_b32_e32 v191, 0                                      // 000000005C84: 7F7E0280
	v_accvgpr_write_b32 a200, 0                                // 000000005C88: D3D940C8 18000080
	v_mov_b32_e32 v192, 0                                      // 000000005C90: 7F800280
	v_accvgpr_write_b32 a201, 0                                // 000000005C94: D3D940C9 18000080
	v_mov_b32_e32 v193, 0                                      // 000000005C9C: 7F820280
	v_accvgpr_write_b32 a202, 0                                // 000000005CA0: D3D940CA 18000080
	v_mov_b32_e32 v194, 0                                      // 000000005CA8: 7F840280
	v_accvgpr_write_b32 a203, 0                                // 000000005CAC: D3D940CB 18000080
	v_mov_b32_e32 v195, 0                                      // 000000005CB4: 7F860280
	v_accvgpr_write_b32 a204, 0                                // 000000005CB8: D3D940CC 18000080
	v_mov_b32_e32 v196, 0                                      // 000000005CC0: 7F880280
	v_accvgpr_write_b32 a205, 0                                // 000000005CC4: D3D940CD 18000080
	v_mov_b32_e32 v197, 0                                      // 000000005CCC: 7F8A0280
	v_accvgpr_write_b32 a206, 0                                // 000000005CD0: D3D940CE 18000080
	v_mov_b32_e32 v198, 0                                      // 000000005CD8: 7F8C0280
	v_accvgpr_write_b32 a207, 0                                // 000000005CDC: D3D940CF 18000080
	v_mov_b32_e32 v199, 0                                      // 000000005CE4: 7F8E0280
	v_accvgpr_write_b32 a208, 0                                // 000000005CE8: D3D940D0 18000080
	v_mov_b32_e32 v200, 0                                      // 000000005CF0: 7F900280
	v_accvgpr_write_b32 a209, 0                                // 000000005CF4: D3D940D1 18000080
	v_mov_b32_e32 v201, 0                                      // 000000005CFC: 7F920280
	v_accvgpr_write_b32 a210, 0                                // 000000005D00: D3D940D2 18000080
	v_mov_b32_e32 v202, 0                                      // 000000005D08: 7F940280
	v_accvgpr_write_b32 a211, 0                                // 000000005D0C: D3D940D3 18000080
	v_mov_b32_e32 v203, 0                                      // 000000005D14: 7F960280
	v_accvgpr_write_b32 a212, 0                                // 000000005D18: D3D940D4 18000080
	v_mov_b32_e32 v204, 0                                      // 000000005D20: 7F980280
	v_accvgpr_write_b32 a213, 0                                // 000000005D24: D3D940D5 18000080
	v_mov_b32_e32 v205, 0                                      // 000000005D2C: 7F9A0280
	v_accvgpr_write_b32 a214, 0                                // 000000005D30: D3D940D6 18000080
	v_mov_b32_e32 v206, 0                                      // 000000005D38: 7F9C0280
	v_accvgpr_write_b32 a215, 0                                // 000000005D3C: D3D940D7 18000080
	v_mov_b32_e32 v207, 0                                      // 000000005D44: 7F9E0280
	v_accvgpr_write_b32 a216, 0                                // 000000005D48: D3D940D8 18000080
	v_mov_b32_e32 v208, 0                                      // 000000005D50: 7FA00280
	v_accvgpr_write_b32 a217, 0                                // 000000005D54: D3D940D9 18000080
	v_mov_b32_e32 v209, 0                                      // 000000005D5C: 7FA20280
	v_accvgpr_write_b32 a218, 0                                // 000000005D60: D3D940DA 18000080
	v_mov_b32_e32 v210, 0                                      // 000000005D68: 7FA40280
	v_accvgpr_write_b32 a219, 0                                // 000000005D6C: D3D940DB 18000080
	v_mov_b32_e32 v211, 0                                      // 000000005D74: 7FA60280
	v_accvgpr_write_b32 a220, 0                                // 000000005D78: D3D940DC 18000080
	v_mov_b32_e32 v212, 0                                      // 000000005D80: 7FA80280
	v_accvgpr_write_b32 a221, 0                                // 000000005D84: D3D940DD 18000080
	v_mov_b32_e32 v213, 0                                      // 000000005D8C: 7FAA0280
	v_accvgpr_write_b32 a222, 0                                // 000000005D90: D3D940DE 18000080
	v_mov_b32_e32 v214, 0                                      // 000000005D98: 7FAC0280
	v_accvgpr_write_b32 a223, 0                                // 000000005D9C: D3D940DF 18000080
	v_mov_b32_e32 v215, 0                                      // 000000005DA4: 7FAE0280
	v_accvgpr_write_b32 a224, 0                                // 000000005DA8: D3D940E0 18000080
	v_mov_b32_e32 v216, 0                                      // 000000005DB0: 7FB00280
	v_accvgpr_write_b32 a225, 0                                // 000000005DB4: D3D940E1 18000080
	v_mov_b32_e32 v217, 0                                      // 000000005DBC: 7FB20280
	v_accvgpr_write_b32 a226, 0                                // 000000005DC0: D3D940E2 18000080
	v_mov_b32_e32 v218, 0                                      // 000000005DC8: 7FB40280
	v_accvgpr_write_b32 a227, 0                                // 000000005DCC: D3D940E3 18000080
	v_mov_b32_e32 v219, 0                                      // 000000005DD4: 7FB60280
	v_accvgpr_write_b32 a228, 0                                // 000000005DD8: D3D940E4 18000080
	v_mov_b32_e32 v220, 0                                      // 000000005DE0: 7FB80280
	v_accvgpr_write_b32 a229, 0                                // 000000005DE4: D3D940E5 18000080
	v_mov_b32_e32 v221, 0                                      // 000000005DEC: 7FBA0280
	v_accvgpr_write_b32 a230, 0                                // 000000005DF0: D3D940E6 18000080
	v_mov_b32_e32 v222, 0                                      // 000000005DF8: 7FBC0280
	v_accvgpr_write_b32 a231, 0                                // 000000005DFC: D3D940E7 18000080
	v_mov_b32_e32 v223, 0                                      // 000000005E04: 7FBE0280
	v_accvgpr_write_b32 a232, 0                                // 000000005E08: D3D940E8 18000080
	v_mov_b32_e32 v224, 0                                      // 000000005E10: 7FC00280
	v_accvgpr_write_b32 a233, 0                                // 000000005E14: D3D940E9 18000080
	v_mov_b32_e32 v225, 0                                      // 000000005E1C: 7FC20280
	v_accvgpr_write_b32 a234, 0                                // 000000005E20: D3D940EA 18000080
	v_mov_b32_e32 v226, 0                                      // 000000005E28: 7FC40280
	v_accvgpr_write_b32 a235, 0                                // 000000005E2C: D3D940EB 18000080
	v_mov_b32_e32 v227, 0                                      // 000000005E34: 7FC60280
	v_accvgpr_write_b32 a236, 0                                // 000000005E38: D3D940EC 18000080
	v_mov_b32_e32 v228, 0                                      // 000000005E40: 7FC80280
	v_accvgpr_write_b32 a237, 0                                // 000000005E44: D3D940ED 18000080
	v_mov_b32_e32 v229, 0                                      // 000000005E4C: 7FCA0280
	v_accvgpr_write_b32 a238, 0                                // 000000005E50: D3D940EE 18000080
	v_mov_b32_e32 v230, 0                                      // 000000005E58: 7FCC0280
	v_accvgpr_write_b32 a239, 0                                // 000000005E5C: D3D940EF 18000080
	v_mov_b32_e32 v231, 0                                      // 000000005E64: 7FCE0280
	v_accvgpr_write_b32 a240, 0                                // 000000005E68: D3D940F0 18000080
	v_mov_b32_e32 v232, 0                                      // 000000005E70: 7FD00280
	v_accvgpr_write_b32 a241, 0                                // 000000005E74: D3D940F1 18000080
	v_mov_b32_e32 v233, 0                                      // 000000005E7C: 7FD20280
	v_accvgpr_write_b32 a242, 0                                // 000000005E80: D3D940F2 18000080
	v_mov_b32_e32 v234, 0                                      // 000000005E88: 7FD40280
	v_accvgpr_write_b32 a243, 0                                // 000000005E8C: D3D940F3 18000080
	v_mov_b32_e32 v235, 0                                      // 000000005E94: 7FD60280
	v_accvgpr_write_b32 a244, 0                                // 000000005E98: D3D940F4 18000080
	v_mov_b32_e32 v236, 0                                      // 000000005EA0: 7FD80280
	v_accvgpr_write_b32 a245, 0                                // 000000005EA4: D3D940F5 18000080
	v_mov_b32_e32 v237, 0                                      // 000000005EAC: 7FDA0280
	v_accvgpr_write_b32 a246, 0                                // 000000005EB0: D3D940F6 18000080
	v_mov_b32_e32 v238, 0                                      // 000000005EB8: 7FDC0280
	v_accvgpr_write_b32 a247, 0                                // 000000005EBC: D3D940F7 18000080
	v_mov_b32_e32 v239, 0                                      // 000000005EC4: 7FDE0280
	v_accvgpr_write_b32 a248, 0                                // 000000005EC8: D3D940F8 18000080
	v_mov_b32_e32 v240, 0                                      // 000000005ED0: 7FE00280
	v_accvgpr_write_b32 a249, 0                                // 000000005ED4: D3D940F9 18000080
	v_mov_b32_e32 v241, 0                                      // 000000005EDC: 7FE20280
	v_accvgpr_write_b32 a250, 0                                // 000000005EE0: D3D940FA 18000080
	v_mov_b32_e32 v242, 0                                      // 000000005EE8: 7FE40280
	v_accvgpr_write_b32 a251, 0                                // 000000005EEC: D3D940FB 18000080
	v_mov_b32_e32 v243, 0                                      // 000000005EF4: 7FE60280
	v_accvgpr_write_b32 a252, 0                                // 000000005EF8: D3D940FC 18000080
	v_mov_b32_e32 v244, 0                                      // 000000005F00: 7FE80280
	v_accvgpr_write_b32 a253, 0                                // 000000005F04: D3D940FD 18000080
	v_mov_b32_e32 v245, 0                                      // 000000005F0C: 7FEA0280
	v_accvgpr_write_b32 a254, 0                                // 000000005F10: D3D940FE 18000080
	v_mov_b32_e32 v246, 0                                      // 000000005F18: 7FEC0280
	v_accvgpr_write_b32 a255, 0                                // 000000005F1C: D3D940FF 18000080
	v_mov_b32_e32 v247, 0                                      // 000000005F24: 7FEE0280
	v_mov_b32_e32 v136, 0                                      // 000000005F28: 7F100280
	v_mov_b32_e32 v137, 0                                      // 000000005F2C: 7F120280
	v_mov_b32_e32 v138, 0                                      // 000000005F30: 7F140280
	v_mov_b32_e32 v139, 0                                      // 000000005F34: 7F160280
	v_mov_b32_e32 v140, 0                                      // 000000005F38: 7F180280
	v_mov_b32_e32 v141, 0                                      // 000000005F3C: 7F1A0280
	v_mov_b32_e32 v142, 0                                      // 000000005F40: 7F1C0280
	v_mov_b32_e32 v143, 0                                      // 000000005F44: 7F1E0280
	v_mov_b32_e32 v128, 0                                      // 000000005F48: 7F000280
	v_mov_b32_e32 v129, 0                                      // 000000005F4C: 7F020280
	v_mov_b32_e32 v130, 0                                      // 000000005F50: 7F040280
	v_mov_b32_e32 v131, 0                                      // 000000005F54: 7F060280
	v_mov_b32_e32 v132, 0                                      // 000000005F58: 7F080280
	v_mov_b32_e32 v133, 0                                      // 000000005F5C: 7F0A0280
	v_mov_b32_e32 v134, 0                                      // 000000005F60: 7F0C0280
	v_mov_b32_e32 v135, 0                                      // 000000005F64: 7F0E0280
	s_waitcnt lgkmcnt(0)                                       // 000000005F68: BF8CC07F
	s_barrier                                                  // 000000005F6C: BF8A0000
	buffer_load_dword v32, v1, s[8:11], 0 idxen                // 000000005F70: E0502000 80022001
	buffer_load_dword v33, v2, s[8:11], 0 idxen                // 000000005F78: E0502000 80022102
	buffer_load_dword v34, v3, s[8:11], 0 idxen                // 000000005F80: E0502000 80022203
	buffer_load_dword v35, v4, s[8:11], 0 idxen                // 000000005F88: E0502000 80022304
	buffer_load_dword v40, v248, s[20:23], 0 idxen             // 000000005F90: E0502000 800528F8
	buffer_load_dword v41, v249, s[20:23], 0 idxen             // 000000005F98: E0502000 800529F9
	buffer_load_dword v42, v250, s[20:23], 0 idxen             // 000000005FA0: E0502000 80052AFA
	buffer_load_dword v43, v251, s[20:23], 0 idxen             // 000000005FA8: E0502000 80052BFB
	buffer_load_dword v9, s[24:27], 0 idxen lds                // 000000005FB0: E0512000 80060009
	s_mov_b32 m0, s79                                          // 000000005FB8: BEFC004F
	v_add_u32_e32 v9, s69, v9                                  // 000000005FBC: 68121245
	v_add_u32_e32 v1, s68, v1                                  // 000000005FC0: 68020244
	v_add_u32_e32 v2, s68, v2                                  // 000000005FC4: 68040444
	v_add_u32_e32 v3, s68, v3                                  // 000000005FC8: 68060644
	v_add_u32_e32 v4, s68, v4                                  // 000000005FCC: 68080844
	v_add_u32_e32 v248, s100, v248                             // 000000005FD0: 69F1F064
	v_add_u32_e32 v249, s100, v249                             // 000000005FD4: 69F3F264
	v_add_u32_e32 v250, s100, v250                             // 000000005FD8: 69F5F464
	v_add_u32_e32 v251, s100, v251                             // 000000005FDC: 69F7F664
	v_mul_f32_e32 v124, s48, v124                              // 000000005FE0: 0AF8F830
	v_perm_b32 v84, v37, v36, s63                              // 000000005FE4: D1ED0054 00FE4925
	v_perm_b32 v85, v37, v36, s64                              // 000000005FEC: D1ED0055 01024925
	v_perm_b32 v86, v39, v38, s63                              // 000000005FF4: D1ED0056 00FE4D27
	v_perm_b32 v87, v39, v38, s64                              // 000000005FFC: D1ED0057 01024D27
	v_perm_b32 v88, v45, v44, s63                              // 000000006004: D1ED0058 00FE592D
	v_perm_b32 v89, v45, v44, s64                              // 00000000600C: D1ED0059 0102592D
	v_perm_b32 v90, v47, v46, s63                              // 000000006014: D1ED005A 00FE5D2F
	v_perm_b32 v91, v47, v46, s64                              // 00000000601C: D1ED005B 01025D2F
	v_mov_b32_dpp v127, v124 quad_perm:[3,3,3,3] row_mask:0xf bank_mask:0xf// 000000006024: 7EFE02FA FF00FF7C
	v_mov_b32_dpp v126, v124 quad_perm:[2,2,2,2] row_mask:0xf bank_mask:0xf// 00000000602C: 7EFC02FA FF00AA7C
	v_mov_b32_dpp v125, v124 quad_perm:[1,1,1,1] row_mask:0xf bank_mask:0xf// 000000006034: 7EFA02FA FF00557C
	v_mov_b32_dpp v124, v124 quad_perm:[0,0,0,0] row_mask:0xf bank_mask:0xf// 00000000603C: 7EF802FA FF00007C
	s_waitcnt vmcnt(9)                                         // 000000006044: BF8C0F79
	s_barrier                                                  // 000000006048: BF8A0000
	s_cmp_lt_i32 s46, 2                                        // 00000000604C: BF04822E
	s_cbranch_scc0 label_0E45                                  // 000000006050: BF8405A6

0000000000006054 <label_0895>:
	s_waitcnt lgkmcnt(0)                                       // 000000006054: BF8CC07F
	s_barrier                                                  // 000000006058: BF8A0000
	v_mfma_f32_16x16x16_f16 v[48:51], a[144:145], a[0:1], 0    // 00000000605C: D3CD0030 1A020190
	ds_write_b32 v11, v44 offset:8704                          // 000000006064: D81A2200 00002C0B
	ds_write_b32 v11, v45 offset:9760                          // 00000000606C: D81A2620 00002D0B
	v_mfma_f32_16x16x16_f16 v[48:51], a[146:147], a[2:3], v[48:51]// 000000006074: D3CD0030 1CC20592
	v_mul_f32_e32 v128, s47, v128                              // 00000000607C: 0B01002F
	v_mul_f32_e32 v129, s47, v129                              // 000000006080: 0B03022F
	v_mfma_f32_16x16x16_f16 v[48:51], a[148:149], a[4:5], v[48:51]// 000000006084: D3CD0030 1CC20994
	ds_write_b32 v11, v46 offset:8832                          // 00000000608C: D81A2280 00002E0B
	ds_write_b32 v11, v47 offset:9888                          // 000000006094: D81A26A0 00002F0B
	v_mfma_f32_16x16x16_f16 v[48:51], a[150:151], a[6:7], v[48:51]// 00000000609C: D3CD0030 1CC20D96
	v_mul_f32_e32 v130, s47, v130                              // 0000000060A4: 0B05042F
	v_mul_f32_e32 v131, s47, v131                              // 0000000060A8: 0B07062F
	v_mfma_f32_16x16x16_f16 v[48:51], a[152:153], a[8:9], v[48:51]// 0000000060AC: D3CD0030 1CC21198
	ds_write_b64 v20, v[128:129] offset:24320                  // 0000000060B4: D89A5F00 00008014
	v_mfma_f32_16x16x16_f16 v[48:51], a[154:155], a[10:11], v[48:51]// 0000000060BC: D3CD0030 1CC2159A
	v_mul_f32_e32 v132, s47, v132                              // 0000000060C4: 0B09082F
	v_mul_f32_e32 v133, s47, v133                              // 0000000060C8: 0B0B0A2F
	v_mfma_f32_16x16x16_f16 v[48:51], a[156:157], a[12:13], v[48:51]// 0000000060CC: D3CD0030 1CC2199C
	ds_write_b64 v20, v[130:131] offset:24832                  // 0000000060D4: D89A6100 00008214
	v_mfma_f32_16x16x16_f16 v[48:51], a[158:159], a[14:15], v[48:51]// 0000000060DC: D3CD0030 1CC21D9E
	v_mul_f32_e32 v134, s47, v134                              // 0000000060E4: 0B0D0C2F
	v_mul_f32_e32 v135, s47, v135                              // 0000000060E8: 0B0F0E2F
	v_mfma_f32_16x16x16_f16 v[52:55], a[144:145], a[16:17], 0  // 0000000060EC: D3CD0034 1A022190
	ds_write_b64 v20, v[132:133] offset:25344                  // 0000000060F4: D89A6300 00008414
	v_mfma_f32_16x16x16_f16 v[52:55], a[146:147], a[18:19], v[52:55]// 0000000060FC: D3CD0034 1CD22592
	buffer_atomic_add_f32 v140, v7, s[32:35], 0 offen offset:256// 000000006104: E1341100 80088C07
	v_mfma_f32_16x16x16_f16 v[52:55], a[148:149], a[20:21], v[52:55]// 00000000610C: D3CD0034 1CD22994
	ds_write_b64 v20, v[134:135] offset:25856                  // 000000006114: D89A6500 00008614
	v_mfma_f32_16x16x16_f16 v[52:55], a[150:151], a[22:23], v[52:55]// 00000000611C: D3CD0034 1CD22D96
	v_mfma_f32_16x16x16_f16 v[52:55], a[152:153], a[24:25], v[52:55]// 000000006124: D3CD0034 1CD23198
	ds_read_b128 v[108:111], v12 offset:13056                  // 00000000612C: D9FE3300 6C00000C
	ds_write_b32 v11, v36                                      // 000000006134: D81A0000 0000240B
	v_mfma_f32_16x16x16_f16 v[52:55], a[154:155], a[26:27], v[52:55]// 00000000613C: D3CD0034 1CD2359A
	buffer_atomic_add_f32 v141, v8, s[32:35], 0 offen offset:256// 000000006144: E1341100 80088D08
	v_mfma_f32_16x16x16_f16 v[52:55], a[156:157], a[28:29], v[52:55]// 00000000614C: D3CD0034 1CD2399C
	v_mfma_f32_16x16x16_f16 v[52:55], a[158:159], a[30:31], v[52:55]// 000000006154: D3CD0034 1CD23D9E
	ds_read_b128 v[112:115], v12 offset:13568                  // 00000000615C: D9FE3500 7000000C
	ds_write_b32 v11, v37 offset:1056                          // 000000006164: D81A0420 0000250B
	v_mfma_f32_16x16x16_f16 v[56:59], a[144:145], a[32:33], 0  // 00000000616C: D3CD0038 1A024190
	buffer_atomic_add_f32 v142, v7, s[32:35], 0 offen offset:384// 000000006174: E1341180 80088E07
	v_mfma_f32_16x16x16_f16 v[56:59], a[146:147], a[34:35], v[56:59]// 00000000617C: D3CD0038 1CE24592
	v_mfma_f32_16x16x16_f16 v[56:59], a[148:149], a[36:37], v[56:59]// 000000006184: D3CD0038 1CE24994
	ds_read_b128 v[116:119], v12 offset:15232                  // 00000000618C: D9FE3B80 7400000C
	ds_write_b32 v11, v38 offset:128                           // 000000006194: D81A0080 0000260B
	v_mfma_f32_16x16x16_f16 v[56:59], a[150:151], a[38:39], v[56:59]// 00000000619C: D3CD0038 1CE24D96
	v_mfma_f32_16x16x16_f16 v[56:59], a[152:153], a[40:41], v[56:59]// 0000000061A4: D3CD0038 1CE25198
	buffer_atomic_add_f32 v143, v8, s[32:35], 0 offen offset:384// 0000000061AC: E1341180 80088F08
	v_mfma_f32_16x16x16_f16 v[56:59], a[154:155], a[42:43], v[56:59]// 0000000061B4: D3CD0038 1CE2559A
	ds_read_b128 v[120:123], v12 offset:15744                  // 0000000061BC: D9FE3D80 7800000C
	ds_write_b32 v11, v39 offset:1184                          // 0000000061C4: D81A04A0 0000270B
	v_mfma_f32_16x16x16_f16 v[56:59], a[156:157], a[44:45], v[56:59]// 0000000061CC: D3CD0038 1CE2599C
	v_mfma_f32_16x16x16_f16 v[56:59], a[158:159], a[46:47], v[56:59]// 0000000061D4: D3CD0038 1CE25D9E
	s_cmp_eq_i32 s82, 0                                        // 0000000061DC: BF008052
	s_cbranch_scc1 label_098D                                  // 0000000061E0: BF85008F
	s_cmp_lt_i32 s74, 12                                       // 0000000061E4: BF048C4A
	s_cbranch_scc0 label_0938                                  // 0000000061E8: BF84003D
	s_lshl_b32 s60, s74, 4                                     // 0000000061EC: 8E3C844A
	v_sub_i32 v28, v252, s60                                   // 0000000061F0: D29D001C 000079FC
	s_mov_b32 s61, 0                                           // 0000000061F8: BEBD0080
	v_add_i32 v29, v28, s61                                    // 0000000061FC: D29C001D 00007B1C
	v_cmp_gt_i32_e64 s[88:89], v29, 0                          // 000000006204: D0C40058 0001011D
	v_cmp_gt_i32_e64 s[92:93], v29, 1                          // 00000000620C: D0C4005C 0001031D
	v_cndmask_b32_e64 v48, v48, v151, s[88:89]                 // 000000006214: D1000030 01632F30
	v_cndmask_b32_e64 v49, v49, v151, s[92:93]                 // 00000000621C: D1000031 01732F31
	v_cmp_gt_i32_e64 s[88:89], v29, 2                          // 000000006224: D0C40058 0001051D
	v_cmp_gt_i32_e64 s[92:93], v29, 3                          // 00000000622C: D0C4005C 0001071D
	v_cndmask_b32_e64 v50, v50, v151, s[88:89]                 // 000000006234: D1000032 01632F32
	v_cndmask_b32_e64 v51, v51, v151, s[92:93]                 // 00000000623C: D1000033 01732F33
	s_mov_b32 s61, 64                                          // 000000006244: BEBD00C0
	v_add_i32 v29, v28, s61                                    // 000000006248: D29C001D 00007B1C
	v_cmp_gt_i32_e64 s[88:89], v29, 0                          // 000000006250: D0C40058 0001011D
	v_cmp_gt_i32_e64 s[92:93], v29, 1                          // 000000006258: D0C4005C 0001031D
	v_cndmask_b32_e64 v52, v52, v151, s[88:89]                 // 000000006260: D1000034 01632F34
	v_cndmask_b32_e64 v53, v53, v151, s[92:93]                 // 000000006268: D1000035 01732F35
	v_cmp_gt_i32_e64 s[88:89], v29, 2                          // 000000006270: D0C40058 0001051D
	v_cmp_gt_i32_e64 s[92:93], v29, 3                          // 000000006278: D0C4005C 0001071D
	v_cndmask_b32_e64 v54, v54, v151, s[88:89]                 // 000000006280: D1000036 01632F36
	v_cndmask_b32_e64 v55, v55, v151, s[92:93]                 // 000000006288: D1000037 01732F37
	s_mov_b32 s61, 0x80                                        // 000000006290: BEBD00FF 00000080
	v_add_i32 v29, v28, s61                                    // 000000006298: D29C001D 00007B1C
	v_cmp_gt_i32_e64 s[88:89], v29, 0                          // 0000000062A0: D0C40058 0001011D
	v_cmp_gt_i32_e64 s[92:93], v29, 1                          // 0000000062A8: D0C4005C 0001031D
	v_cndmask_b32_e64 v56, v56, v151, s[88:89]                 // 0000000062B0: D1000038 01632F38
	v_cndmask_b32_e64 v57, v57, v151, s[92:93]                 // 0000000062B8: D1000039 01732F39
	v_cmp_gt_i32_e64 s[88:89], v29, 2                          // 0000000062C0: D0C40058 0001051D
	v_cmp_gt_i32_e64 s[92:93], v29, 3                          // 0000000062C8: D0C4005C 0001071D
	v_cndmask_b32_e64 v58, v58, v151, s[88:89]                 // 0000000062D0: D100003A 01632F3A
	v_cndmask_b32_e64 v59, v59, v151, s[92:93]                 // 0000000062D8: D100003B 01732F3B

00000000000062e0 <label_0938>:
	s_cmp_lt_i32 s84, 0xc0                                     // 0000000062E0: BF04FF54 000000C0
	s_cbranch_scc0 label_098D                                  // 0000000062E8: BF84004D
	s_cmp_le_i32 s84, 64                                       // 0000000062EC: BF05C054
	s_cbranch_scc1 label_0944                                  // 0000000062F0: BF850007
	s_cmp_le_i32 s84, 0x80                                     // 0000000062F4: BF05FF54 00000080
	s_cbranch_scc1 label_095C                                  // 0000000062FC: BF850017
	s_cmp_lt_i32 s84, 0xc0                                     // 000000006300: BF04FF54 000000C0
	s_cbranch_scc1 label_0974                                  // 000000006308: BF85002C
	s_branch label_098D                                        // 00000000630C: BF820044

0000000000006310 <label_0944>:
	s_mov_b32 s60, 0                                           // 000000006310: BEBC0080
	v_and_b32_e32 v28, 15, v0                                  // 000000006314: 2638008F
	v_add_u32_e64 v28, v28, s60                                // 000000006318: D134001C 0000791C
	v_mul_i32_i24_e64 v29, s46, 16                             // 000000006320: D106001D 0001202E
	v_add_u32_e32 v28, v28, v29                                // 000000006328: 68383B1C
	v_cmp_lt_u32_e64 s[60:61], v28, s84                        // 00000000632C: D0C9003C 0000A91C
	s_nop 1                                                    // 000000006334: BF800001
	v_cndmask_b32_e64 v48, v151, v48, s[60:61]                 // 000000006338: D1000030 00F26197
	v_cndmask_b32_e64 v49, v151, v49, s[60:61]                 // 000000006340: D1000031 00F26397
	v_cndmask_b32_e64 v50, v151, v50, s[60:61]                 // 000000006348: D1000032 00F26597
	v_cndmask_b32_e64 v51, v151, v51, s[60:61]                 // 000000006350: D1000033 00F26797
	s_branch label_096F                                        // 000000006358: BF820013

000000000000635c <label_095C>:
	s_mov_b32 s60, 64                                          // 00000000635C: BEBC00C0
	v_and_b32_e32 v28, 15, v0                                  // 000000006360: 2638008F
	v_add_u32_e64 v28, v28, s60                                // 000000006364: D134001C 0000791C
	v_mul_i32_i24_e64 v29, s46, 16                             // 00000000636C: D106001D 0001202E
	v_add_u32_e32 v28, v28, v29                                // 000000006374: 68383B1C
	v_cmp_lt_u32_e64 s[60:61], v28, s84                        // 000000006378: D0C9003C 0000A91C
	s_nop 1                                                    // 000000006380: BF800001
	v_cndmask_b32_e64 v52, v151, v52, s[60:61]                 // 000000006384: D1000034 00F26997
	v_cndmask_b32_e64 v53, v151, v53, s[60:61]                 // 00000000638C: D1000035 00F26B97
	v_cndmask_b32_e64 v54, v151, v54, s[60:61]                 // 000000006394: D1000036 00F26D97
	v_cndmask_b32_e64 v55, v151, v55, s[60:61]                 // 00000000639C: D1000037 00F26F97
	s_branch label_0988                                        // 0000000063A4: BF820019

00000000000063a8 <label_096F>:
	v_mov_b32_e32 v52, v151                                    // 0000000063A8: 7E680397
	v_mov_b32_e32 v53, v151                                    // 0000000063AC: 7E6A0397
	v_mov_b32_e32 v54, v151                                    // 0000000063B0: 7E6C0397
	v_mov_b32_e32 v55, v151                                    // 0000000063B4: 7E6E0397
	s_branch label_0988                                        // 0000000063B8: BF820014

00000000000063bc <label_0974>:
	s_mov_b32 s60, 0x80                                        // 0000000063BC: BEBC00FF 00000080
	v_and_b32_e32 v28, 15, v0                                  // 0000000063C4: 2638008F
	v_add_u32_e64 v28, v28, s60                                // 0000000063C8: D134001C 0000791C
	v_mul_i32_i24_e64 v29, s46, 16                             // 0000000063D0: D106001D 0001202E
	v_add_u32_e32 v28, v28, v29                                // 0000000063D8: 68383B1C
	v_cmp_lt_u32_e64 s[60:61], v28, s84                        // 0000000063DC: D0C9003C 0000A91C
	s_nop 1                                                    // 0000000063E4: BF800001
	v_cndmask_b32_e64 v56, v151, v56, s[60:61]                 // 0000000063E8: D1000038 00F27197
	v_cndmask_b32_e64 v57, v151, v57, s[60:61]                 // 0000000063F0: D1000039 00F27397
	v_cndmask_b32_e64 v58, v151, v58, s[60:61]                 // 0000000063F8: D100003A 00F27597
	v_cndmask_b32_e64 v59, v151, v59, s[60:61]                 // 000000006400: D100003B 00F27797
	s_branch label_098D                                        // 000000006408: BF820005

000000000000640c <label_0988>:
	v_mov_b32_e32 v56, v151                                    // 00000000640C: 7E700397
	v_mov_b32_e32 v57, v151                                    // 000000006410: 7E720397
	v_mov_b32_e32 v58, v151                                    // 000000006414: 7E740397
	v_mov_b32_e32 v59, v151                                    // 000000006418: 7E760397
	s_branch label_098D                                        // 00000000641C: BF820000

0000000000006420 <label_098D>:
	s_addk_i32 s74, 0x1                                        // 000000006420: B74A0001
	s_waitcnt lgkmcnt(8)                                       // 000000006424: BF8CC87F
	s_barrier                                                  // 000000006428: BF8A0000
	v_mfma_f32_16x16x16_f16 v[72:75], v[92:93], a[96:97], 0    // 00000000642C: D3CD0048 1202C15C
	ds_read_b128 a[144:147], v12 offset:4352                   // 000000006434: DBFE1100 9000000C
	ds_read_b128 a[148:151], v12 offset:4864                   // 00000000643C: DBFE1300 9400000C
	v_mfma_f32_16x16x16_f16 v[72:75], v[94:95], a[98:99], v[72:75]// 000000006444: D3CD0048 1522C55E
	v_fma_f32 v48, v48, s57, -v124                             // 00000000644C: D1CB0030 85F07330
	v_fma_f32 v49, v49, s57, -v125                             // 000000006454: D1CB0031 85F47331
	v_fma_f32 v50, v50, s57, -v126                             // 00000000645C: D1CB0032 85F87332
	v_mfma_f32_16x16x16_f16 v[72:75], v[96:97], a[100:101], v[72:75]// 000000006464: D3CD0048 1522C960
	v_fma_f32 v51, v51, s57, -v127                             // 00000000646C: D1CB0033 85FC7333
	v_fma_f32 v52, v52, s57, -v124                             // 000000006474: D1CB0034 85F07334
	v_fma_f32 v53, v53, s57, -v125                             // 00000000647C: D1CB0035 85F47335
	v_mfma_f32_16x16x16_f16 v[72:75], v[98:99], a[102:103], v[72:75]// 000000006484: D3CD0048 1522CD62
	v_fma_f32 v54, v54, s57, -v126                             // 00000000648C: D1CB0036 85F87336
	v_fma_f32 v55, v55, s57, -v127                             // 000000006494: D1CB0037 85FC7337
	v_fma_f32 v56, v56, s57, -v124                             // 00000000649C: D1CB0038 85F07338
	v_mfma_f32_16x16x16_f16 v[72:75], v[100:101], a[104:105], v[72:75]// 0000000064A4: D3CD0048 1522D164
	ds_read_b128 a[152:155], v12 offset:6528                   // 0000000064AC: DBFE1980 9800000C
	ds_read_b128 a[156:159], v12 offset:7040                   // 0000000064B4: DBFE1B80 9C00000C
	v_mfma_f32_16x16x16_f16 v[72:75], v[102:103], a[106:107], v[72:75]// 0000000064BC: D3CD0048 1522D566
	v_fma_f32 v57, v57, s57, -v125                             // 0000000064C4: D1CB0039 85F47339
	v_fma_f32 v58, v58, s57, -v126                             // 0000000064CC: D1CB003A 85F8733A
	v_fma_f32 v59, v59, s57, -v127                             // 0000000064D4: D1CB003B 85FC733B
	v_mfma_f32_16x16x16_f16 v[72:75], v[104:105], a[108:109], v[72:75]// 0000000064DC: D3CD0048 1522D968
	v_exp_f32_e32 v48, v48                                     // 0000000064E4: 7E604130
	v_mfma_f32_16x16x16_f16 v[72:75], v[106:107], a[110:111], v[72:75]// 0000000064E8: D3CD0048 1522DD6A
	v_exp_f32_e32 v49, v49                                     // 0000000064F0: 7E624131
	v_mfma_f32_16x16x16_f16 v[76:79], v[92:93], a[112:113], 0  // 0000000064F4: D3CD004C 1202E15C
	ds_read_b64 v[136:137], v19 offset:24320                   // 0000000064FC: D8EC5F00 88000013
	ds_read_b64 v[138:139], v19 offset:26368                   // 000000006504: D8EC6700 8A000013
	v_mfma_f32_16x16x16_f16 v[76:79], v[94:95], a[114:115], v[76:79]// 00000000650C: D3CD004C 1532E55E
	v_exp_f32_e32 v50, v50                                     // 000000006514: 7E644132
	v_mfma_f32_16x16x16_f16 v[76:79], v[96:97], a[116:117], v[76:79]// 000000006518: D3CD004C 1532E960
	ds_read_b64 v[140:141], v19 offset:28416                   // 000000006520: D8EC6F00 8C000013
	ds_read_b64 v[142:143], v19 offset:30464                   // 000000006528: D8EC7700 8E000013
	v_mfma_f32_16x16x16_f16 v[76:79], v[98:99], a[118:119], v[76:79]// 000000006530: D3CD004C 1532ED62
	v_exp_f32_e32 v51, v51                                     // 000000006538: 7E664133
	v_mfma_f32_16x16x16_f16 v[76:79], v[100:101], a[120:121], v[76:79]// 00000000653C: D3CD004C 1532F164
	v_exp_f32_e32 v52, v52                                     // 000000006544: 7E684134
	v_mfma_f32_16x16x16_f16 v[76:79], v[102:103], a[122:123], v[76:79]// 000000006548: D3CD004C 1532F566
	v_exp_f32_e32 v53, v53                                     // 000000006550: 7E6A4135
	v_mfma_f32_16x16x16_f16 v[76:79], v[104:105], a[124:125], v[76:79]// 000000006554: D3CD004C 1532F968
	v_exp_f32_e32 v54, v54                                     // 00000000655C: 7E6C4136
	v_mfma_f32_16x16x16_f16 v[76:79], v[106:107], a[126:127], v[76:79]// 000000006560: D3CD004C 1532FD6A
	v_exp_f32_e32 v55, v55                                     // 000000006568: 7E6E4137
	v_mfma_f32_16x16x16_f16 v[80:83], v[92:93], a[128:129], 0  // 00000000656C: D3CD0050 1203015C
	v_exp_f32_e32 v56, v56                                     // 000000006574: 7E704138
	v_mfma_f32_16x16x16_f16 v[80:83], v[94:95], a[130:131], v[80:83]// 000000006578: D3CD0050 1543055E
	v_exp_f32_e32 v57, v57                                     // 000000006580: 7E724139
	v_mfma_f32_16x16x16_f16 v[80:83], v[96:97], a[132:133], v[80:83]// 000000006584: D3CD0050 15430960
	v_exp_f32_e32 v58, v58                                     // 00000000658C: 7E74413A
	v_mfma_f32_16x16x16_f16 v[80:83], v[98:99], a[134:135], v[80:83]// 000000006590: D3CD0050 15430D62
	v_exp_f32_e32 v59, v59                                     // 000000006598: 7E76413B
	v_mfma_f32_16x16x16_f16 v[80:83], v[100:101], a[136:137], v[80:83]// 00000000659C: D3CD0050 15431164
	v_cvt_pkrtz_f16_f32 v144, v48, v49                         // 0000000065A4: D2960090 00026330
	v_cvt_pkrtz_f16_f32 v145, v50, v51                         // 0000000065AC: D2960091 00026732
	v_cvt_pkrtz_f16_f32 v146, v52, v53                         // 0000000065B4: D2960092 00026B34
	v_mfma_f32_16x16x16_f16 v[80:83], v[102:103], a[138:139], v[80:83]// 0000000065BC: D3CD0050 15431566
	v_cvt_pkrtz_f16_f32 v147, v54, v55                         // 0000000065C4: D2960093 00026F36
	v_cvt_pkrtz_f16_f32 v148, v56, v57                         // 0000000065CC: D2960094 00027338
	v_cvt_pkrtz_f16_f32 v149, v58, v59                         // 0000000065D4: D2960095 0002773A
	v_mfma_f32_16x16x16_f16 v[80:83], v[104:105], a[140:141], v[80:83]// 0000000065DC: D3CD0050 15431968
	v_add_u32_e32 v7, s66, v7                                  // 0000000065E4: 680E0E42
	v_add_u32_e32 v8, s66, v8                                  // 0000000065E8: 68101042
	v_mfma_f32_16x16x16_f16 v[80:83], v[106:107], a[142:143], v[80:83]// 0000000065EC: D3CD0050 15431D6A
	s_waitcnt lgkmcnt(0)                                       // 0000000065F4: BF8CC07F
	s_barrier                                                  // 0000000065F8: BF8A0000
	v_mfma_f32_16x16x16_f16 v[152:155], v[108:109], v[144:145], v[152:155]// 0000000065FC: D3CD0098 0663216C
	v_subrev_f32_dpp v72, v150, v72 quad_perm:[0,0,0,0] row_mask:0xf bank_mask:0xf// 000000006604: 069090FA FF000096
	v_subrev_f32_dpp v73, v150, v73 quad_perm:[1,1,1,1] row_mask:0xf bank_mask:0xf// 00000000660C: 069292FA FF005596
	v_subrev_f32_dpp v74, v150, v74 quad_perm:[2,2,2,2] row_mask:0xf bank_mask:0xf// 000000006614: 069494FA FF00AA96
	v_mfma_f32_16x16x16_f16 v[156:159], v[110:111], v[144:145], v[156:159]// 00000000661C: D3CD009C 0673216E
	v_subrev_f32_dpp v75, v150, v75 quad_perm:[3,3,3,3] row_mask:0xf bank_mask:0xf// 000000006624: 069696FA FF00FF96
	v_subrev_f32_dpp v76, v150, v76 quad_perm:[0,0,0,0] row_mask:0xf bank_mask:0xf// 00000000662C: 069898FA FF000096
	v_subrev_f32_dpp v77, v150, v77 quad_perm:[1,1,1,1] row_mask:0xf bank_mask:0xf// 000000006634: 069A9AFA FF005596
	v_mfma_f32_16x16x16_f16 v[160:163], v[112:113], v[144:145], v[160:163]// 00000000663C: D3CD00A0 06832170
	v_mul_f32_e32 v72, v48, v72                                // 000000006644: 0A909130
	v_mul_f32_e32 v73, v49, v73                                // 000000006648: 0A929331
	v_mul_f32_e32 v74, v50, v74                                // 00000000664C: 0A949532
	v_mfma_f32_16x16x16_f16 v[164:167], v[114:115], v[144:145], v[164:167]// 000000006650: D3CD00A4 06932172
	v_mul_f32_e32 v75, v51, v75                                // 000000006658: 0A969733
	v_mul_f32_e32 v76, v52, v76                                // 00000000665C: 0A989934
	v_mul_f32_e32 v77, v53, v77                                // 000000006660: 0A9A9B35
	v_mfma_f32_16x16x16_f16 v[168:171], v[116:117], v[144:145], v[168:171]// 000000006664: D3CD00A8 06A32174
	v_cvt_pkrtz_f16_f32 v72, v72, v73                          // 00000000666C: D2960048 00029348
	v_cvt_pkrtz_f16_f32 v73, v74, v75                          // 000000006674: D2960049 0002974A
	v_cvt_pkrtz_f16_f32 v74, v76, v77                          // 00000000667C: D296004A 00029B4C
	v_mfma_f32_16x16x16_f16 v[172:175], v[118:119], v[144:145], v[172:175]// 000000006684: D3CD00AC 06B32176
	v_mov_b32_dpp v16, v72 quad_perm:[1,0,3,2] row_mask:0xf bank_mask:0xf// 00000000668C: 7E2002FA FF00B148
	v_perm_b32 v48, v16, v72, v15                              // 000000006694: D1ED0030 043E9110
	v_mov_b32_dpp v16, v73 quad_perm:[1,0,3,2] row_mask:0xf bank_mask:0xf// 00000000669C: 7E2002FA FF00B149
	v_mfma_f32_16x16x16_f16 v[176:179], v[120:121], v[144:145], v[176:179]// 0000000066A4: D3CD00B0 06C32178
	v_perm_b32 v49, v16, v73, v15                              // 0000000066AC: D1ED0031 043E9310
	v_mov_b32_dpp v16, v74 quad_perm:[1,0,3,2] row_mask:0xf bank_mask:0xf// 0000000066B4: 7E2002FA FF00B14A
	v_perm_b32 v50, v16, v74, v15                              // 0000000066BC: D1ED0032 043E9510
	v_mfma_f32_16x16x16_f16 v[180:183], v[122:123], v[144:145], v[180:183]// 0000000066C4: D3CD00B4 06D3217A
	ds_write_b32 v18, v48 offset:17408                         // 0000000066CC: D81A4400 00003012
	v_mfma_f32_16x16x16_f16 v[184:187], v[108:109], v[146:147], v[184:187]// 0000000066D4: D3CD00B8 06E3256C
	v_subrev_f32_dpp v78, v150, v78 quad_perm:[2,2,2,2] row_mask:0xf bank_mask:0xf// 0000000066DC: 069C9CFA FF00AA96
	v_subrev_f32_dpp v79, v150, v79 quad_perm:[3,3,3,3] row_mask:0xf bank_mask:0xf// 0000000066E4: 069E9EFA FF00FF96
	v_subrev_f32_dpp v80, v150, v80 quad_perm:[0,0,0,0] row_mask:0xf bank_mask:0xf// 0000000066EC: 06A0A0FA FF000096
	v_mfma_f32_16x16x16_f16 v[188:191], v[110:111], v[146:147], v[188:191]// 0000000066F4: D3CD00BC 06F3256E
	ds_write_b32 v18, v49 offset:17952                         // 0000000066FC: D81A4620 00003112
	v_mfma_f32_16x16x16_f16 v[192:195], v[112:113], v[146:147], v[192:195]// 000000006704: D3CD00C0 07032570
	v_subrev_f32_dpp v81, v150, v81 quad_perm:[1,1,1,1] row_mask:0xf bank_mask:0xf// 00000000670C: 06A2A2FA FF005596
	v_subrev_f32_dpp v82, v150, v82 quad_perm:[2,2,2,2] row_mask:0xf bank_mask:0xf// 000000006714: 06A4A4FA FF00AA96
	v_subrev_f32_dpp v83, v150, v83 quad_perm:[3,3,3,3] row_mask:0xf bank_mask:0xf// 00000000671C: 06A6A6FA FF00FF96
	v_mfma_f32_16x16x16_f16 v[196:199], v[114:115], v[146:147], v[196:199]// 000000006724: D3CD00C4 07132572
	ds_write_b32 v18, v50 offset:19712                         // 00000000672C: D81A4D00 00003212
	v_mfma_f32_16x16x16_f16 v[200:203], v[116:117], v[146:147], v[200:203]// 000000006734: D3CD00C8 07232574
	v_mul_f32_e32 v78, v54, v78                                // 00000000673C: 0A9C9D36
	v_mul_f32_e32 v79, v55, v79                                // 000000006740: 0A9E9F37
	v_mul_f32_e32 v80, v56, v80                                // 000000006744: 0AA0A138
	v_mfma_f32_16x16x16_f16 v[204:207], v[118:119], v[146:147], v[204:207]// 000000006748: D3CD00CC 07332576
	v_mul_f32_e32 v81, v57, v81                                // 000000006750: 0AA2A339
	v_mul_f32_e32 v82, v58, v82                                // 000000006754: 0AA4A53A
	v_mul_f32_e32 v83, v59, v83                                // 000000006758: 0AA6A73B
	v_mfma_f32_16x16x16_f16 v[208:211], v[120:121], v[146:147], v[208:211]// 00000000675C: D3CD00D0 07432578
	v_cvt_pkrtz_f16_f32 v75, v78, v79                          // 000000006764: D296004B 00029F4E
	v_cvt_pkrtz_f16_f32 v76, v80, v81                          // 00000000676C: D296004C 0002A350
	v_cvt_pkrtz_f16_f32 v77, v82, v83                          // 000000006774: D296004D 0002A752
	v_mfma_f32_16x16x16_f16 v[212:215], v[122:123], v[146:147], v[212:215]// 00000000677C: D3CD00D4 0753257A
	v_mov_b32_dpp v16, v75 quad_perm:[1,0,3,2] row_mask:0xf bank_mask:0xf// 000000006784: 7E2002FA FF00B14B
	v_perm_b32 v51, v16, v75, v15                              // 00000000678C: D1ED0033 043E9710
	v_mov_b32_dpp v16, v76 quad_perm:[1,0,3,2] row_mask:0xf bank_mask:0xf// 000000006794: 7E2002FA FF00B14C
	v_mfma_f32_16x16x16_f16 v[216:219], v[108:109], v[148:149], v[216:219]// 00000000679C: D3CD00D8 0763296C
	v_perm_b32 v52, v16, v76, v15                              // 0000000067A4: D1ED0034 043E9910
	v_mov_b32_dpp v16, v77 quad_perm:[1,0,3,2] row_mask:0xf bank_mask:0xf// 0000000067AC: 7E2002FA FF00B14D
	v_perm_b32 v53, v16, v77, v15                              // 0000000067B4: D1ED0035 043E9B10
	v_mfma_f32_16x16x16_f16 v[220:223], v[110:111], v[148:149], v[220:223]// 0000000067BC: D3CD00DC 0773296E
	ds_write_b32 v18, v51 offset:20256                         // 0000000067C4: D81A4F20 00003312
	v_mfma_f32_16x16x16_f16 v[224:227], v[112:113], v[148:149], v[224:227]// 0000000067CC: D3CD00E0 07832970
	v_mfma_f32_16x16x16_f16 v[228:231], v[114:115], v[148:149], v[228:231]// 0000000067D4: D3CD00E4 07932972
	ds_write_b32 v18, v52 offset:22016                         // 0000000067DC: D81A5600 00003412
	ds_write_b32 v18, v53 offset:22560                         // 0000000067E4: D81A5820 00003512
	v_mfma_f32_16x16x16_f16 v[232:235], v[116:117], v[148:149], v[232:235]// 0000000067EC: D3CD00E8 07A32974
	v_mfma_f32_16x16x16_f16 v[236:239], v[118:119], v[148:149], v[236:239]// 0000000067F4: D3CD00EC 07B32976
	ds_write_b32 v13, v84 offset:4352                          // 0000000067FC: D81A1100 0000540D
	ds_write_b32 v13, v85 offset:5408                          // 000000006804: D81A1520 0000550D
	v_mfma_f32_16x16x16_f16 v[240:243], v[120:121], v[148:149], v[240:243]// 00000000680C: D3CD00F0 07C32978
	s_nop 0                                                    // 000000006814: BF800000
	s_nop 0                                                    // 000000006818: BF800000
	s_nop 0                                                    // 00000000681C: BF800000
	v_mfma_f32_16x16x16_f16 v[244:247], v[122:123], v[148:149], v[244:247]// 000000006820: D3CD00F4 07D3297A
	ds_write_b32 v13, v86 offset:4480                          // 000000006828: D81A1180 0000560D
	ds_write_b32 v13, v87 offset:5536                          // 000000006830: D81A15A0 0000570D
	s_barrier                                                  // 000000006838: BF8A0000
	v_mfma_f32_16x16x16_f16 a[160:163], a[144:145], v[72:73], a[160:163]// 00000000683C: D3CD80A0 0E829190
	buffer_atomic_add_f32 v136, v7, s[32:35], 0 offen          // 000000006844: E1341000 80088807
	v_mfma_f32_16x16x16_f16 a[164:167], a[146:147], v[72:73], a[164:167]// 00000000684C: D3CD80A4 0E929192
	ds_read_b32 v124, v21 offset:51200                         // 000000006854: D86CC800 7C000015
	ds_read_b32 v150, v21 offset:51456                         // 00000000685C: D86CC900 96000015
	v_mfma_f32_16x16x16_f16 a[168:171], a[148:149], v[72:73], a[168:171]// 000000006864: D3CD80A8 0EA29194
	s_waitcnt lgkmcnt(6)                                       // 00000000686C: BF8CC67F
	s_barrier                                                  // 000000006870: BF8A0000
	v_mfma_f32_16x16x16_f16 a[172:175], a[150:151], v[72:73], a[172:175]// 000000006874: D3CD80AC 0EB29196
	ds_read_b128 v[48:51], v17 offset:17408                    // 00000000687C: D9FE4400 30000011
	v_mfma_f32_16x16x16_f16 a[176:179], a[152:153], v[72:73], a[176:179]// 000000006884: D3CD80B0 0EC29198
	v_mfma_f32_16x16x16_f16 a[180:183], a[154:155], v[72:73], a[180:183]// 00000000688C: D3CD80B4 0ED2919A
	ds_read_b128 v[52:55], v17 offset:18560                    // 000000006894: D9FE4880 34000011
	v_mfma_f32_16x16x16_f16 a[184:187], a[156:157], v[72:73], a[184:187]// 00000000689C: D3CD80B8 0EE2919C
	buffer_atomic_add_f32 v137, v8, s[32:35], 0 offen          // 0000000068A4: E1341000 80088908
	v_mfma_f32_16x16x16_f16 a[188:191], a[158:159], v[72:73], a[188:191]// 0000000068AC: D3CD80BC 0EF2919E
	ds_read_b128 v[56:59], v17 offset:19712                    // 0000000068B4: D9FE4D00 38000011
	v_mfma_f32_16x16x16_f16 a[192:195], a[144:145], v[74:75], a[192:195]// 0000000068BC: D3CD80C0 0F029590
	v_mfma_f32_16x16x16_f16 a[196:199], a[146:147], v[74:75], a[196:199]// 0000000068C4: D3CD80C4 0F129592
	ds_read_b128 v[60:63], v17 offset:20864                    // 0000000068CC: D9FE5180 3C000011
	v_mfma_f32_16x16x16_f16 a[200:203], a[148:149], v[74:75], a[200:203]// 0000000068D4: D3CD80C8 0F229594
	v_mfma_f32_16x16x16_f16 a[204:207], a[150:151], v[74:75], a[204:207]// 0000000068DC: D3CD80CC 0F329596
	ds_read_b128 v[64:67], v17 offset:22016                    // 0000000068E4: D9FE5600 40000011
	v_mfma_f32_16x16x16_f16 a[208:211], a[152:153], v[74:75], a[208:211]// 0000000068EC: D3CD80D0 0F429598
	buffer_atomic_add_f32 v138, v7, s[32:35], 0 offen offset:128// 0000000068F4: E1341080 80088A07
	v_mfma_f32_16x16x16_f16 a[212:215], a[154:155], v[74:75], a[212:215]// 0000000068FC: D3CD80D4 0F52959A
	ds_read_b128 v[68:71], v17 offset:23168                    // 000000006904: D9FE5A80 44000011
	v_mfma_f32_16x16x16_f16 a[216:219], a[156:157], v[74:75], a[216:219]// 00000000690C: D3CD80D8 0F62959C
	v_mfma_f32_16x16x16_f16 a[220:223], a[158:159], v[74:75], a[220:223]// 000000006914: D3CD80DC 0F72959E
	ds_write_b32 v13, v88 offset:13056                         // 00000000691C: D81A3300 0000580D
	v_mfma_f32_16x16x16_f16 a[224:227], a[144:145], v[76:77], a[224:227]// 000000006924: D3CD80E0 0F829990
	v_mfma_f32_16x16x16_f16 a[228:231], a[146:147], v[76:77], a[228:231]// 00000000692C: D3CD80E4 0F929992
	ds_write_b32 v13, v89 offset:14112                         // 000000006934: D81A3720 0000590D
	v_mfma_f32_16x16x16_f16 a[232:235], a[148:149], v[76:77], a[232:235]// 00000000693C: D3CD80E8 0FA29994
	buffer_atomic_add_f32 v139, v8, s[32:35], 0 offen offset:128// 000000006944: E1341080 80088B08
	v_mfma_f32_16x16x16_f16 a[236:239], a[150:151], v[76:77], a[236:239]// 00000000694C: D3CD80EC 0FB29996
	ds_write_b32 v13, v90 offset:13184                         // 000000006954: D81A3380 00005A0D
	v_mfma_f32_16x16x16_f16 a[240:243], a[152:153], v[76:77], a[240:243]// 00000000695C: D3CD80F0 0FC29998
	v_mfma_f32_16x16x16_f16 a[244:247], a[154:155], v[76:77], a[244:247]// 000000006964: D3CD80F4 0FD2999A
	ds_write_b32 v13, v91 offset:14240                         // 00000000696C: D81A37A0 00005B0D
	v_mfma_f32_16x16x16_f16 a[248:251], a[156:157], v[76:77], a[248:251]// 000000006974: D3CD80F8 0FE2999C
	v_mfma_f32_16x16x16_f16 a[252:255], a[158:159], v[76:77], a[252:255]// 00000000697C: D3CD80FC 0FF2999E
	s_waitcnt vmcnt(8) lgkmcnt(4)                              // 000000006984: BF8C0478
	s_barrier                                                  // 000000006988: BF8A0000
	v_mfma_f32_16x16x16_f16 v[128:131], v[48:49], a[48:49], 0  // 00000000698C: D3CD0080 12026130
	v_mul_f32_e32 v124, s48, v124                              // 000000006994: 0AF8F830
	s_nop 0                                                    // 000000006998: BF800000
	v_mfma_f32_16x16x16_f16 v[128:131], v[50:51], a[52:53], v[128:131]// 00000000699C: D3CD0080 16026932
	ds_read_b128 a[144:147], v10                               // 0000000069A4: DBFE0000 9000000A
	buffer_load_dword v36, v1, s[8:11], 0 idxen                // 0000000069AC: E0502000 80022401
	v_mfma_f32_16x16x16_f16 v[128:131], v[52:53], a[56:57], v[128:131]// 0000000069B4: D3CD0080 16027134
	v_mfma_f32_16x16x16_f16 v[128:131], v[54:55], a[60:61], v[128:131]// 0000000069BC: D3CD0080 16027936
	ds_read_b128 a[148:151], v10 offset:512                    // 0000000069C4: DBFE0200 9400000A
	buffer_load_dword v37, v2, s[8:11], 0 idxen                // 0000000069CC: E0502000 80022502
	v_mfma_f32_16x16x16_f16 v[128:131], v[56:57], a[64:65], v[128:131]// 0000000069D4: D3CD0080 16028138
	v_perm_b32 v84, v33, v32, s63                              // 0000000069DC: D1ED0054 00FE4121
	v_perm_b32 v85, v33, v32, s64                              // 0000000069E4: D1ED0055 01024121
	v_mfma_f32_16x16x16_f16 v[128:131], v[58:59], a[68:69], v[128:131]// 0000000069EC: D3CD0080 1602893A
	ds_read_b128 a[152:155], v10 offset:2176                   // 0000000069F4: DBFE0880 9800000A
	buffer_load_dword v38, v3, s[8:11], 0 idxen                // 0000000069FC: E0502000 80022603
	v_mfma_f32_16x16x16_f16 v[128:131], v[60:61], a[72:73], v[128:131]// 000000006A04: D3CD0080 1602913C
	v_perm_b32 v86, v35, v34, s63                              // 000000006A0C: D1ED0056 00FE4523
	v_perm_b32 v87, v35, v34, s64                              // 000000006A14: D1ED0057 01024523
	v_mfma_f32_16x16x16_f16 v[128:131], v[62:63], a[76:77], v[128:131]// 000000006A1C: D3CD0080 1602993E
	ds_read_b128 a[156:159], v10 offset:2688                   // 000000006A24: DBFE0A80 9C00000A
	buffer_load_dword v39, v4, s[8:11], 0 idxen                // 000000006A2C: E0502000 80022704
	v_mfma_f32_16x16x16_f16 v[128:131], v[64:65], a[80:81], v[128:131]// 000000006A34: D3CD0080 1602A140
	v_perm_b32 v88, v41, v40, s63                              // 000000006A3C: D1ED0058 00FE5129
	v_perm_b32 v89, v41, v40, s64                              // 000000006A44: D1ED0059 01025129
	v_mfma_f32_16x16x16_f16 v[128:131], v[66:67], a[84:85], v[128:131]// 000000006A4C: D3CD0080 1602A942
	ds_read_b128 v[92:95], v10 offset:8704                     // 000000006A54: D9FE2200 5C00000A
	buffer_load_dword v44, v248, s[20:23], 0 idxen             // 000000006A5C: E0502000 80052CF8
	v_mfma_f32_16x16x16_f16 v[128:131], v[68:69], a[88:89], v[128:131]// 000000006A64: D3CD0080 1602B144
	v_perm_b32 v90, v43, v42, s63                              // 000000006A6C: D1ED005A 00FE552B
	v_perm_b32 v91, v43, v42, s64                              // 000000006A74: D1ED005B 0102552B
	v_mfma_f32_16x16x16_f16 v[128:131], v[70:71], a[92:93], v[128:131]// 000000006A7C: D3CD0080 1602B946
	ds_read_b128 v[96:99], v10 offset:9216                     // 000000006A84: D9FE2400 6000000A
	buffer_load_dword v45, v249, s[20:23], 0 idxen             // 000000006A8C: E0502000 80052DF9
	v_mfma_f32_16x16x16_f16 v[132:135], v[48:49], a[50:51], 0  // 000000006A94: D3CD0084 12026530
	v_mov_b32_dpp v127, v124 quad_perm:[3,3,3,3] row_mask:0xf bank_mask:0xf// 000000006A9C: 7EFE02FA FF00FF7C
	v_mov_b32_dpp v126, v124 quad_perm:[2,2,2,2] row_mask:0xf bank_mask:0xf// 000000006AA4: 7EFC02FA FF00AA7C
	v_mfma_f32_16x16x16_f16 v[132:135], v[50:51], a[54:55], v[132:135]// 000000006AAC: D3CD0084 16126D32
	ds_read_b128 v[100:103], v10 offset:10880                  // 000000006AB4: D9FE2A80 6400000A
	buffer_load_dword v46, v250, s[20:23], 0 idxen             // 000000006ABC: E0502000 80052EFA
	v_mfma_f32_16x16x16_f16 v[132:135], v[52:53], a[58:59], v[132:135]// 000000006AC4: D3CD0084 16127534
	v_mov_b32_dpp v125, v124 quad_perm:[1,1,1,1] row_mask:0xf bank_mask:0xf// 000000006ACC: 7EFA02FA FF00557C
	v_mov_b32_dpp v124, v124 quad_perm:[0,0,0,0] row_mask:0xf bank_mask:0xf// 000000006AD4: 7EF802FA FF00007C
	s_add_u32 s60, 64, s59                                     // 000000006ADC: 803C3BC0
	v_mfma_f32_16x16x16_f16 v[132:135], v[54:55], a[62:63], v[132:135]// 000000006AE0: D3CD0084 16127D36
	ds_read_b128 v[104:107], v10 offset:11392                  // 000000006AE8: D9FE2C80 6800000A
	buffer_load_dword v47, v251, s[20:23], 0 idxen             // 000000006AF0: E0502000 80052FFB
	v_mfma_f32_16x16x16_f16 v[132:135], v[56:57], a[66:67], v[132:135]// 000000006AF8: D3CD0084 16128538
	s_cmp_lt_u32 s60, s58                                      // 000000006B00: BF0A3A3C
	s_cselect_b32 s68, s68, 0                                  // 000000006B04: 85448044
	s_cselect_b32 s100, s100, 0                                // 000000006B08: 85648064
	s_cselect_b32 s69, s69, 0                                  // 000000006B0C: 85458045
	v_mfma_f32_16x16x16_f16 v[132:135], v[58:59], a[70:71], v[132:135]// 000000006B10: D3CD0084 16128D3A
	buffer_load_dword v9, s[24:27], 0 idxen lds                // 000000006B18: E0512000 80060009
	v_mfma_f32_16x16x16_f16 v[132:135], v[60:61], a[74:75], v[132:135]// 000000006B20: D3CD0084 1612953C
	v_add_u32_e32 v1, s68, v1                                  // 000000006B28: 68020244
	v_add_u32_e32 v2, s68, v2                                  // 000000006B2C: 68040444
	v_add_u32_e32 v3, s68, v3                                  // 000000006B30: 68060644
	v_add_u32_e32 v4, s68, v4                                  // 000000006B34: 68080844
	v_mfma_f32_16x16x16_f16 v[132:135], v[62:63], a[78:79], v[132:135]// 000000006B38: D3CD0084 16129D3E
	v_add_u32_e32 v248, s100, v248                             // 000000006B40: 69F1F064
	v_add_u32_e32 v249, s100, v249                             // 000000006B44: 69F3F264
	v_add_u32_e32 v250, s100, v250                             // 000000006B48: 69F5F464
	v_add_u32_e32 v251, s100, v251                             // 000000006B4C: 69F7F664
	v_mfma_f32_16x16x16_f16 v[132:135], v[64:65], a[82:83], v[132:135]// 000000006B50: D3CD0084 1612A540
	s_mov_b32 m0, s78                                          // 000000006B58: BEFC004E
	v_add_u32_e32 v9, s69, v9                                  // 000000006B5C: 68121245
	v_mfma_f32_16x16x16_f16 v[132:135], v[66:67], a[86:87], v[132:135]// 000000006B60: D3CD0084 1612AD42
	s_cmp_ge_u32 s59, s73                                      // 000000006B68: BF09493B
	s_cselect_b32 s66, s67, s66                                // 000000006B6C: 85424243
	v_mfma_f32_16x16x16_f16 v[132:135], v[68:69], a[90:91], v[132:135]// 000000006B70: D3CD0084 1612B544
	s_addk_i32 s59, 0x10                                       // 000000006B78: B73B0010
	s_nop 0                                                    // 000000006B7C: BF800000
	s_cmp_lt_i32 s59, s58                                      // 000000006B80: BF043A3B
	v_mfma_f32_16x16x16_f16 v[132:135], v[70:71], a[94:95], v[132:135]// 000000006B84: D3CD0084 1612BD46
	s_cbranch_scc0 label_0E3E                                  // 000000006B8C: BF8402D0
	s_waitcnt lgkmcnt(0)                                       // 000000006B90: BF8CC07F
	s_barrier                                                  // 000000006B94: BF8A0000
	v_mfma_f32_16x16x16_f16 v[48:51], a[144:145], a[0:1], 0    // 000000006B98: D3CD0030 1A020190
	ds_write_b32 v11, v40 offset:8704                          // 000000006BA0: D81A2200 0000280B
	ds_write_b32 v11, v41 offset:9760                          // 000000006BA8: D81A2620 0000290B
	v_mfma_f32_16x16x16_f16 v[48:51], a[146:147], a[2:3], v[48:51]// 000000006BB0: D3CD0030 1CC20592
	v_mul_f32_e32 v128, s47, v128                              // 000000006BB8: 0B01002F
	v_mul_f32_e32 v129, s47, v129                              // 000000006BBC: 0B03022F
	v_mfma_f32_16x16x16_f16 v[48:51], a[148:149], a[4:5], v[48:51]// 000000006BC0: D3CD0030 1CC20994
	ds_write_b32 v11, v42 offset:8832                          // 000000006BC8: D81A2280 00002A0B
	ds_write_b32 v11, v43 offset:9888                          // 000000006BD0: D81A26A0 00002B0B
	v_mfma_f32_16x16x16_f16 v[48:51], a[150:151], a[6:7], v[48:51]// 000000006BD8: D3CD0030 1CC20D96
	v_mul_f32_e32 v130, s47, v130                              // 000000006BE0: 0B05042F
	v_mul_f32_e32 v131, s47, v131                              // 000000006BE4: 0B07062F
	v_mfma_f32_16x16x16_f16 v[48:51], a[152:153], a[8:9], v[48:51]// 000000006BE8: D3CD0030 1CC21198
	ds_write_b64 v20, v[128:129] offset:24320                  // 000000006BF0: D89A5F00 00008014
	v_mfma_f32_16x16x16_f16 v[48:51], a[154:155], a[10:11], v[48:51]// 000000006BF8: D3CD0030 1CC2159A
	v_mul_f32_e32 v132, s47, v132                              // 000000006C00: 0B09082F
	v_mul_f32_e32 v133, s47, v133                              // 000000006C04: 0B0B0A2F
	v_mfma_f32_16x16x16_f16 v[48:51], a[156:157], a[12:13], v[48:51]// 000000006C08: D3CD0030 1CC2199C
	ds_write_b64 v20, v[130:131] offset:24832                  // 000000006C10: D89A6100 00008214
	v_mfma_f32_16x16x16_f16 v[48:51], a[158:159], a[14:15], v[48:51]// 000000006C18: D3CD0030 1CC21D9E
	v_mul_f32_e32 v134, s47, v134                              // 000000006C20: 0B0D0C2F
	v_mul_f32_e32 v135, s47, v135                              // 000000006C24: 0B0F0E2F
	v_mfma_f32_16x16x16_f16 v[52:55], a[144:145], a[16:17], 0  // 000000006C28: D3CD0034 1A022190
	ds_write_b64 v20, v[132:133] offset:25344                  // 000000006C30: D89A6300 00008414
	v_mfma_f32_16x16x16_f16 v[52:55], a[146:147], a[18:19], v[52:55]// 000000006C38: D3CD0034 1CD22592
	buffer_atomic_add_f32 v140, v7, s[32:35], 0 offen offset:256// 000000006C40: E1341100 80088C07
	v_mfma_f32_16x16x16_f16 v[52:55], a[148:149], a[20:21], v[52:55]// 000000006C48: D3CD0034 1CD22994
	ds_write_b64 v20, v[134:135] offset:25856                  // 000000006C50: D89A6500 00008614
	v_mfma_f32_16x16x16_f16 v[52:55], a[150:151], a[22:23], v[52:55]// 000000006C58: D3CD0034 1CD22D96
	v_mfma_f32_16x16x16_f16 v[52:55], a[152:153], a[24:25], v[52:55]// 000000006C60: D3CD0034 1CD23198
	ds_read_b128 v[108:111], v12 offset:13056                  // 000000006C68: D9FE3300 6C00000C
	ds_write_b32 v11, v32                                      // 000000006C70: D81A0000 0000200B
	v_mfma_f32_16x16x16_f16 v[52:55], a[154:155], a[26:27], v[52:55]// 000000006C78: D3CD0034 1CD2359A
	buffer_atomic_add_f32 v141, v8, s[32:35], 0 offen offset:256// 000000006C80: E1341100 80088D08
	v_mfma_f32_16x16x16_f16 v[52:55], a[156:157], a[28:29], v[52:55]// 000000006C88: D3CD0034 1CD2399C
	v_mfma_f32_16x16x16_f16 v[52:55], a[158:159], a[30:31], v[52:55]// 000000006C90: D3CD0034 1CD23D9E
	ds_read_b128 v[112:115], v12 offset:13568                  // 000000006C98: D9FE3500 7000000C
	ds_write_b32 v11, v33 offset:1056                          // 000000006CA0: D81A0420 0000210B
	v_mfma_f32_16x16x16_f16 v[56:59], a[144:145], a[32:33], 0  // 000000006CA8: D3CD0038 1A024190
	buffer_atomic_add_f32 v142, v7, s[32:35], 0 offen offset:384// 000000006CB0: E1341180 80088E07
	v_mfma_f32_16x16x16_f16 v[56:59], a[146:147], a[34:35], v[56:59]// 000000006CB8: D3CD0038 1CE24592
	v_mfma_f32_16x16x16_f16 v[56:59], a[148:149], a[36:37], v[56:59]// 000000006CC0: D3CD0038 1CE24994
	ds_read_b128 v[116:119], v12 offset:15232                  // 000000006CC8: D9FE3B80 7400000C
	ds_write_b32 v11, v34 offset:128                           // 000000006CD0: D81A0080 0000220B
	v_mfma_f32_16x16x16_f16 v[56:59], a[150:151], a[38:39], v[56:59]// 000000006CD8: D3CD0038 1CE24D96
	v_mfma_f32_16x16x16_f16 v[56:59], a[152:153], a[40:41], v[56:59]// 000000006CE0: D3CD0038 1CE25198
	buffer_atomic_add_f32 v143, v8, s[32:35], 0 offen offset:384// 000000006CE8: E1341180 80088F08
	v_mfma_f32_16x16x16_f16 v[56:59], a[154:155], a[42:43], v[56:59]// 000000006CF0: D3CD0038 1CE2559A
	ds_read_b128 v[120:123], v12 offset:15744                  // 000000006CF8: D9FE3D80 7800000C
	ds_write_b32 v11, v35 offset:1184                          // 000000006D00: D81A04A0 0000230B
	v_mfma_f32_16x16x16_f16 v[56:59], a[156:157], a[44:45], v[56:59]// 000000006D08: D3CD0038 1CE2599C
	v_mfma_f32_16x16x16_f16 v[56:59], a[158:159], a[46:47], v[56:59]// 000000006D10: D3CD0038 1CE25D9E
	s_cmp_eq_i32 s82, 0                                        // 000000006D18: BF008052
	s_cbranch_scc1 label_0C61                                  // 000000006D1C: BF85008F
	s_cmp_lt_i32 s74, 12                                       // 000000006D20: BF048C4A
	s_cbranch_scc0 label_0C0C                                  // 000000006D24: BF84003D
	s_lshl_b32 s60, s74, 4                                     // 000000006D28: 8E3C844A
	v_sub_i32 v28, v252, s60                                   // 000000006D2C: D29D001C 000079FC
	s_mov_b32 s61, 0                                           // 000000006D34: BEBD0080
	v_add_i32 v29, v28, s61                                    // 000000006D38: D29C001D 00007B1C
	v_cmp_gt_i32_e64 s[88:89], v29, 0                          // 000000006D40: D0C40058 0001011D
	v_cmp_gt_i32_e64 s[92:93], v29, 1                          // 000000006D48: D0C4005C 0001031D
	v_cndmask_b32_e64 v48, v48, v151, s[88:89]                 // 000000006D50: D1000030 01632F30
	v_cndmask_b32_e64 v49, v49, v151, s[92:93]                 // 000000006D58: D1000031 01732F31
	v_cmp_gt_i32_e64 s[88:89], v29, 2                          // 000000006D60: D0C40058 0001051D
	v_cmp_gt_i32_e64 s[92:93], v29, 3                          // 000000006D68: D0C4005C 0001071D
	v_cndmask_b32_e64 v50, v50, v151, s[88:89]                 // 000000006D70: D1000032 01632F32
	v_cndmask_b32_e64 v51, v51, v151, s[92:93]                 // 000000006D78: D1000033 01732F33
	s_mov_b32 s61, 64                                          // 000000006D80: BEBD00C0
	v_add_i32 v29, v28, s61                                    // 000000006D84: D29C001D 00007B1C
	v_cmp_gt_i32_e64 s[88:89], v29, 0                          // 000000006D8C: D0C40058 0001011D
	v_cmp_gt_i32_e64 s[92:93], v29, 1                          // 000000006D94: D0C4005C 0001031D
	v_cndmask_b32_e64 v52, v52, v151, s[88:89]                 // 000000006D9C: D1000034 01632F34
	v_cndmask_b32_e64 v53, v53, v151, s[92:93]                 // 000000006DA4: D1000035 01732F35
	v_cmp_gt_i32_e64 s[88:89], v29, 2                          // 000000006DAC: D0C40058 0001051D
	v_cmp_gt_i32_e64 s[92:93], v29, 3                          // 000000006DB4: D0C4005C 0001071D
	v_cndmask_b32_e64 v54, v54, v151, s[88:89]                 // 000000006DBC: D1000036 01632F36
	v_cndmask_b32_e64 v55, v55, v151, s[92:93]                 // 000000006DC4: D1000037 01732F37
	s_mov_b32 s61, 0x80                                        // 000000006DCC: BEBD00FF 00000080
	v_add_i32 v29, v28, s61                                    // 000000006DD4: D29C001D 00007B1C
	v_cmp_gt_i32_e64 s[88:89], v29, 0                          // 000000006DDC: D0C40058 0001011D
	v_cmp_gt_i32_e64 s[92:93], v29, 1                          // 000000006DE4: D0C4005C 0001031D
	v_cndmask_b32_e64 v56, v56, v151, s[88:89]                 // 000000006DEC: D1000038 01632F38
	v_cndmask_b32_e64 v57, v57, v151, s[92:93]                 // 000000006DF4: D1000039 01732F39
	v_cmp_gt_i32_e64 s[88:89], v29, 2                          // 000000006DFC: D0C40058 0001051D
	v_cmp_gt_i32_e64 s[92:93], v29, 3                          // 000000006E04: D0C4005C 0001071D
	v_cndmask_b32_e64 v58, v58, v151, s[88:89]                 // 000000006E0C: D100003A 01632F3A
	v_cndmask_b32_e64 v59, v59, v151, s[92:93]                 // 000000006E14: D100003B 01732F3B

0000000000006e1c <label_0C0C>:
	s_cmp_lt_i32 s84, 0xc0                                     // 000000006E1C: BF04FF54 000000C0
	s_cbranch_scc0 label_0C61                                  // 000000006E24: BF84004D
	s_cmp_le_i32 s84, 64                                       // 000000006E28: BF05C054
	s_cbranch_scc1 label_0C18                                  // 000000006E2C: BF850007
	s_cmp_le_i32 s84, 0x80                                     // 000000006E30: BF05FF54 00000080
	s_cbranch_scc1 label_0C30                                  // 000000006E38: BF850017
	s_cmp_lt_i32 s84, 0xc0                                     // 000000006E3C: BF04FF54 000000C0
	s_cbranch_scc1 label_0C48                                  // 000000006E44: BF85002C
	s_branch label_0C61                                        // 000000006E48: BF820044

0000000000006e4c <label_0C18>:
	s_mov_b32 s60, 0                                           // 000000006E4C: BEBC0080
	v_and_b32_e32 v28, 15, v0                                  // 000000006E50: 2638008F
	v_add_u32_e64 v28, v28, s60                                // 000000006E54: D134001C 0000791C
	v_mul_i32_i24_e64 v29, s46, 16                             // 000000006E5C: D106001D 0001202E
	v_add_u32_e32 v28, v28, v29                                // 000000006E64: 68383B1C
	v_cmp_lt_u32_e64 s[60:61], v28, s84                        // 000000006E68: D0C9003C 0000A91C
	s_nop 1                                                    // 000000006E70: BF800001
	v_cndmask_b32_e64 v48, v151, v48, s[60:61]                 // 000000006E74: D1000030 00F26197
	v_cndmask_b32_e64 v49, v151, v49, s[60:61]                 // 000000006E7C: D1000031 00F26397
	v_cndmask_b32_e64 v50, v151, v50, s[60:61]                 // 000000006E84: D1000032 00F26597
	v_cndmask_b32_e64 v51, v151, v51, s[60:61]                 // 000000006E8C: D1000033 00F26797
	s_branch label_0C43                                        // 000000006E94: BF820013

0000000000006e98 <label_0C30>:
	s_mov_b32 s60, 64                                          // 000000006E98: BEBC00C0
	v_and_b32_e32 v28, 15, v0                                  // 000000006E9C: 2638008F
	v_add_u32_e64 v28, v28, s60                                // 000000006EA0: D134001C 0000791C
	v_mul_i32_i24_e64 v29, s46, 16                             // 000000006EA8: D106001D 0001202E
	v_add_u32_e32 v28, v28, v29                                // 000000006EB0: 68383B1C
	v_cmp_lt_u32_e64 s[60:61], v28, s84                        // 000000006EB4: D0C9003C 0000A91C
	s_nop 1                                                    // 000000006EBC: BF800001
	v_cndmask_b32_e64 v52, v151, v52, s[60:61]                 // 000000006EC0: D1000034 00F26997
	v_cndmask_b32_e64 v53, v151, v53, s[60:61]                 // 000000006EC8: D1000035 00F26B97
	v_cndmask_b32_e64 v54, v151, v54, s[60:61]                 // 000000006ED0: D1000036 00F26D97
	v_cndmask_b32_e64 v55, v151, v55, s[60:61]                 // 000000006ED8: D1000037 00F26F97
	s_branch label_0C5C                                        // 000000006EE0: BF820019

0000000000006ee4 <label_0C43>:
	v_mov_b32_e32 v52, v151                                    // 000000006EE4: 7E680397
	v_mov_b32_e32 v53, v151                                    // 000000006EE8: 7E6A0397
	v_mov_b32_e32 v54, v151                                    // 000000006EEC: 7E6C0397
	v_mov_b32_e32 v55, v151                                    // 000000006EF0: 7E6E0397
	s_branch label_0C5C                                        // 000000006EF4: BF820014

0000000000006ef8 <label_0C48>:
	s_mov_b32 s60, 0x80                                        // 000000006EF8: BEBC00FF 00000080
	v_and_b32_e32 v28, 15, v0                                  // 000000006F00: 2638008F
	v_add_u32_e64 v28, v28, s60                                // 000000006F04: D134001C 0000791C
	v_mul_i32_i24_e64 v29, s46, 16                             // 000000006F0C: D106001D 0001202E
	v_add_u32_e32 v28, v28, v29                                // 000000006F14: 68383B1C
	v_cmp_lt_u32_e64 s[60:61], v28, s84                        // 000000006F18: D0C9003C 0000A91C
	s_nop 1                                                    // 000000006F20: BF800001
	v_cndmask_b32_e64 v56, v151, v56, s[60:61]                 // 000000006F24: D1000038 00F27197
	v_cndmask_b32_e64 v57, v151, v57, s[60:61]                 // 000000006F2C: D1000039 00F27397
	v_cndmask_b32_e64 v58, v151, v58, s[60:61]                 // 000000006F34: D100003A 00F27597
	v_cndmask_b32_e64 v59, v151, v59, s[60:61]                 // 000000006F3C: D100003B 00F27797
	s_branch label_0C61                                        // 000000006F44: BF820005

0000000000006f48 <label_0C5C>:
	v_mov_b32_e32 v56, v151                                    // 000000006F48: 7E700397
	v_mov_b32_e32 v57, v151                                    // 000000006F4C: 7E720397
	v_mov_b32_e32 v58, v151                                    // 000000006F50: 7E740397
	v_mov_b32_e32 v59, v151                                    // 000000006F54: 7E760397
	s_branch label_0C61                                        // 000000006F58: BF820000

0000000000006f5c <label_0C61>:
	s_addk_i32 s74, 0x1                                        // 000000006F5C: B74A0001
	s_waitcnt lgkmcnt(8)                                       // 000000006F60: BF8CC87F
	s_barrier                                                  // 000000006F64: BF8A0000
	v_mfma_f32_16x16x16_f16 v[72:75], v[92:93], a[96:97], 0    // 000000006F68: D3CD0048 1202C15C
	ds_read_b128 a[144:147], v12 offset:4352                   // 000000006F70: DBFE1100 9000000C
	ds_read_b128 a[148:151], v12 offset:4864                   // 000000006F78: DBFE1300 9400000C
	v_mfma_f32_16x16x16_f16 v[72:75], v[94:95], a[98:99], v[72:75]// 000000006F80: D3CD0048 1522C55E
	v_fma_f32 v48, v48, s57, -v124                             // 000000006F88: D1CB0030 85F07330
	v_fma_f32 v49, v49, s57, -v125                             // 000000006F90: D1CB0031 85F47331
	v_fma_f32 v50, v50, s57, -v126                             // 000000006F98: D1CB0032 85F87332
	v_mfma_f32_16x16x16_f16 v[72:75], v[96:97], a[100:101], v[72:75]// 000000006FA0: D3CD0048 1522C960
	v_fma_f32 v51, v51, s57, -v127                             // 000000006FA8: D1CB0033 85FC7333
	v_fma_f32 v52, v52, s57, -v124                             // 000000006FB0: D1CB0034 85F07334
	v_fma_f32 v53, v53, s57, -v125                             // 000000006FB8: D1CB0035 85F47335
	v_mfma_f32_16x16x16_f16 v[72:75], v[98:99], a[102:103], v[72:75]// 000000006FC0: D3CD0048 1522CD62
	v_fma_f32 v54, v54, s57, -v126                             // 000000006FC8: D1CB0036 85F87336
	v_fma_f32 v55, v55, s57, -v127                             // 000000006FD0: D1CB0037 85FC7337
	v_fma_f32 v56, v56, s57, -v124                             // 000000006FD8: D1CB0038 85F07338
	v_mfma_f32_16x16x16_f16 v[72:75], v[100:101], a[104:105], v[72:75]// 000000006FE0: D3CD0048 1522D164
	ds_read_b128 a[152:155], v12 offset:6528                   // 000000006FE8: DBFE1980 9800000C
	ds_read_b128 a[156:159], v12 offset:7040                   // 000000006FF0: DBFE1B80 9C00000C
	v_mfma_f32_16x16x16_f16 v[72:75], v[102:103], a[106:107], v[72:75]// 000000006FF8: D3CD0048 1522D566
	v_fma_f32 v57, v57, s57, -v125                             // 000000007000: D1CB0039 85F47339
	v_fma_f32 v58, v58, s57, -v126                             // 000000007008: D1CB003A 85F8733A
	v_fma_f32 v59, v59, s57, -v127                             // 000000007010: D1CB003B 85FC733B
	v_mfma_f32_16x16x16_f16 v[72:75], v[104:105], a[108:109], v[72:75]// 000000007018: D3CD0048 1522D968
	v_exp_f32_e32 v48, v48                                     // 000000007020: 7E604130
	v_mfma_f32_16x16x16_f16 v[72:75], v[106:107], a[110:111], v[72:75]// 000000007024: D3CD0048 1522DD6A
	v_exp_f32_e32 v49, v49                                     // 00000000702C: 7E624131
	v_mfma_f32_16x16x16_f16 v[76:79], v[92:93], a[112:113], 0  // 000000007030: D3CD004C 1202E15C
	ds_read_b64 v[136:137], v19 offset:24320                   // 000000007038: D8EC5F00 88000013
	ds_read_b64 v[138:139], v19 offset:26368                   // 000000007040: D8EC6700 8A000013
	v_mfma_f32_16x16x16_f16 v[76:79], v[94:95], a[114:115], v[76:79]// 000000007048: D3CD004C 1532E55E
	v_exp_f32_e32 v50, v50                                     // 000000007050: 7E644132
	v_mfma_f32_16x16x16_f16 v[76:79], v[96:97], a[116:117], v[76:79]// 000000007054: D3CD004C 1532E960
	ds_read_b64 v[140:141], v19 offset:28416                   // 00000000705C: D8EC6F00 8C000013
	ds_read_b64 v[142:143], v19 offset:30464                   // 000000007064: D8EC7700 8E000013
	v_mfma_f32_16x16x16_f16 v[76:79], v[98:99], a[118:119], v[76:79]// 00000000706C: D3CD004C 1532ED62
	v_exp_f32_e32 v51, v51                                     // 000000007074: 7E664133
	v_mfma_f32_16x16x16_f16 v[76:79], v[100:101], a[120:121], v[76:79]// 000000007078: D3CD004C 1532F164
	v_exp_f32_e32 v52, v52                                     // 000000007080: 7E684134
	v_mfma_f32_16x16x16_f16 v[76:79], v[102:103], a[122:123], v[76:79]// 000000007084: D3CD004C 1532F566
	v_exp_f32_e32 v53, v53                                     // 00000000708C: 7E6A4135
	v_mfma_f32_16x16x16_f16 v[76:79], v[104:105], a[124:125], v[76:79]// 000000007090: D3CD004C 1532F968
	v_exp_f32_e32 v54, v54                                     // 000000007098: 7E6C4136
	v_mfma_f32_16x16x16_f16 v[76:79], v[106:107], a[126:127], v[76:79]// 00000000709C: D3CD004C 1532FD6A
	v_exp_f32_e32 v55, v55                                     // 0000000070A4: 7E6E4137
	v_mfma_f32_16x16x16_f16 v[80:83], v[92:93], a[128:129], 0  // 0000000070A8: D3CD0050 1203015C
	v_exp_f32_e32 v56, v56                                     // 0000000070B0: 7E704138
	v_mfma_f32_16x16x16_f16 v[80:83], v[94:95], a[130:131], v[80:83]// 0000000070B4: D3CD0050 1543055E
	v_exp_f32_e32 v57, v57                                     // 0000000070BC: 7E724139
	v_mfma_f32_16x16x16_f16 v[80:83], v[96:97], a[132:133], v[80:83]// 0000000070C0: D3CD0050 15430960
	v_exp_f32_e32 v58, v58                                     // 0000000070C8: 7E74413A
	v_mfma_f32_16x16x16_f16 v[80:83], v[98:99], a[134:135], v[80:83]// 0000000070CC: D3CD0050 15430D62
	v_exp_f32_e32 v59, v59                                     // 0000000070D4: 7E76413B
	v_mfma_f32_16x16x16_f16 v[80:83], v[100:101], a[136:137], v[80:83]// 0000000070D8: D3CD0050 15431164
	v_cvt_pkrtz_f16_f32 v144, v48, v49                         // 0000000070E0: D2960090 00026330
	v_cvt_pkrtz_f16_f32 v145, v50, v51                         // 0000000070E8: D2960091 00026732
	v_cvt_pkrtz_f16_f32 v146, v52, v53                         // 0000000070F0: D2960092 00026B34
	v_mfma_f32_16x16x16_f16 v[80:83], v[102:103], a[138:139], v[80:83]// 0000000070F8: D3CD0050 15431566
	v_cvt_pkrtz_f16_f32 v147, v54, v55                         // 000000007100: D2960093 00026F36
	v_cvt_pkrtz_f16_f32 v148, v56, v57                         // 000000007108: D2960094 00027338
	v_cvt_pkrtz_f16_f32 v149, v58, v59                         // 000000007110: D2960095 0002773A
	v_mfma_f32_16x16x16_f16 v[80:83], v[104:105], a[140:141], v[80:83]// 000000007118: D3CD0050 15431968
	v_add_u32_e32 v7, s66, v7                                  // 000000007120: 680E0E42
	v_add_u32_e32 v8, s66, v8                                  // 000000007124: 68101042
	v_mfma_f32_16x16x16_f16 v[80:83], v[106:107], a[142:143], v[80:83]// 000000007128: D3CD0050 15431D6A
	s_waitcnt lgkmcnt(0)                                       // 000000007130: BF8CC07F
	s_barrier                                                  // 000000007134: BF8A0000
	v_mfma_f32_16x16x16_f16 v[152:155], v[108:109], v[144:145], v[152:155]// 000000007138: D3CD0098 0663216C
	v_subrev_f32_dpp v72, v150, v72 quad_perm:[0,0,0,0] row_mask:0xf bank_mask:0xf// 000000007140: 069090FA FF000096
	v_subrev_f32_dpp v73, v150, v73 quad_perm:[1,1,1,1] row_mask:0xf bank_mask:0xf// 000000007148: 069292FA FF005596
	v_subrev_f32_dpp v74, v150, v74 quad_perm:[2,2,2,2] row_mask:0xf bank_mask:0xf// 000000007150: 069494FA FF00AA96
	v_mfma_f32_16x16x16_f16 v[156:159], v[110:111], v[144:145], v[156:159]// 000000007158: D3CD009C 0673216E
	v_subrev_f32_dpp v75, v150, v75 quad_perm:[3,3,3,3] row_mask:0xf bank_mask:0xf// 000000007160: 069696FA FF00FF96
	v_subrev_f32_dpp v76, v150, v76 quad_perm:[0,0,0,0] row_mask:0xf bank_mask:0xf// 000000007168: 069898FA FF000096
	v_subrev_f32_dpp v77, v150, v77 quad_perm:[1,1,1,1] row_mask:0xf bank_mask:0xf// 000000007170: 069A9AFA FF005596
	v_mfma_f32_16x16x16_f16 v[160:163], v[112:113], v[144:145], v[160:163]// 000000007178: D3CD00A0 06832170
	v_mul_f32_e32 v72, v48, v72                                // 000000007180: 0A909130
	v_mul_f32_e32 v73, v49, v73                                // 000000007184: 0A929331
	v_mul_f32_e32 v74, v50, v74                                // 000000007188: 0A949532
	v_mfma_f32_16x16x16_f16 v[164:167], v[114:115], v[144:145], v[164:167]// 00000000718C: D3CD00A4 06932172
	v_mul_f32_e32 v75, v51, v75                                // 000000007194: 0A969733
	v_mul_f32_e32 v76, v52, v76                                // 000000007198: 0A989934
	v_mul_f32_e32 v77, v53, v77                                // 00000000719C: 0A9A9B35
	v_mfma_f32_16x16x16_f16 v[168:171], v[116:117], v[144:145], v[168:171]// 0000000071A0: D3CD00A8 06A32174
	v_cvt_pkrtz_f16_f32 v72, v72, v73                          // 0000000071A8: D2960048 00029348
	v_cvt_pkrtz_f16_f32 v73, v74, v75                          // 0000000071B0: D2960049 0002974A
	v_cvt_pkrtz_f16_f32 v74, v76, v77                          // 0000000071B8: D296004A 00029B4C
	v_mfma_f32_16x16x16_f16 v[172:175], v[118:119], v[144:145], v[172:175]// 0000000071C0: D3CD00AC 06B32176
	v_mov_b32_dpp v16, v72 quad_perm:[1,0,3,2] row_mask:0xf bank_mask:0xf// 0000000071C8: 7E2002FA FF00B148
	v_perm_b32 v48, v16, v72, v15                              // 0000000071D0: D1ED0030 043E9110
	v_mov_b32_dpp v16, v73 quad_perm:[1,0,3,2] row_mask:0xf bank_mask:0xf// 0000000071D8: 7E2002FA FF00B149
	v_mfma_f32_16x16x16_f16 v[176:179], v[120:121], v[144:145], v[176:179]// 0000000071E0: D3CD00B0 06C32178
	v_perm_b32 v49, v16, v73, v15                              // 0000000071E8: D1ED0031 043E9310
	v_mov_b32_dpp v16, v74 quad_perm:[1,0,3,2] row_mask:0xf bank_mask:0xf// 0000000071F0: 7E2002FA FF00B14A
	v_perm_b32 v50, v16, v74, v15                              // 0000000071F8: D1ED0032 043E9510
	v_mfma_f32_16x16x16_f16 v[180:183], v[122:123], v[144:145], v[180:183]// 000000007200: D3CD00B4 06D3217A
	ds_write_b32 v18, v48 offset:17408                         // 000000007208: D81A4400 00003012
	v_mfma_f32_16x16x16_f16 v[184:187], v[108:109], v[146:147], v[184:187]// 000000007210: D3CD00B8 06E3256C
	v_subrev_f32_dpp v78, v150, v78 quad_perm:[2,2,2,2] row_mask:0xf bank_mask:0xf// 000000007218: 069C9CFA FF00AA96
	v_subrev_f32_dpp v79, v150, v79 quad_perm:[3,3,3,3] row_mask:0xf bank_mask:0xf// 000000007220: 069E9EFA FF00FF96
	v_subrev_f32_dpp v80, v150, v80 quad_perm:[0,0,0,0] row_mask:0xf bank_mask:0xf// 000000007228: 06A0A0FA FF000096
	v_mfma_f32_16x16x16_f16 v[188:191], v[110:111], v[146:147], v[188:191]// 000000007230: D3CD00BC 06F3256E
	ds_write_b32 v18, v49 offset:17952                         // 000000007238: D81A4620 00003112
	v_mfma_f32_16x16x16_f16 v[192:195], v[112:113], v[146:147], v[192:195]// 000000007240: D3CD00C0 07032570
	v_subrev_f32_dpp v81, v150, v81 quad_perm:[1,1,1,1] row_mask:0xf bank_mask:0xf// 000000007248: 06A2A2FA FF005596
	v_subrev_f32_dpp v82, v150, v82 quad_perm:[2,2,2,2] row_mask:0xf bank_mask:0xf// 000000007250: 06A4A4FA FF00AA96
	v_subrev_f32_dpp v83, v150, v83 quad_perm:[3,3,3,3] row_mask:0xf bank_mask:0xf// 000000007258: 06A6A6FA FF00FF96
	v_mfma_f32_16x16x16_f16 v[196:199], v[114:115], v[146:147], v[196:199]// 000000007260: D3CD00C4 07132572
	ds_write_b32 v18, v50 offset:19712                         // 000000007268: D81A4D00 00003212
	v_mfma_f32_16x16x16_f16 v[200:203], v[116:117], v[146:147], v[200:203]// 000000007270: D3CD00C8 07232574
	v_mul_f32_e32 v78, v54, v78                                // 000000007278: 0A9C9D36
	v_mul_f32_e32 v79, v55, v79                                // 00000000727C: 0A9E9F37
	v_mul_f32_e32 v80, v56, v80                                // 000000007280: 0AA0A138
	v_mfma_f32_16x16x16_f16 v[204:207], v[118:119], v[146:147], v[204:207]// 000000007284: D3CD00CC 07332576
	v_mul_f32_e32 v81, v57, v81                                // 00000000728C: 0AA2A339
	v_mul_f32_e32 v82, v58, v82                                // 000000007290: 0AA4A53A
	v_mul_f32_e32 v83, v59, v83                                // 000000007294: 0AA6A73B
	v_mfma_f32_16x16x16_f16 v[208:211], v[120:121], v[146:147], v[208:211]// 000000007298: D3CD00D0 07432578
	v_cvt_pkrtz_f16_f32 v75, v78, v79                          // 0000000072A0: D296004B 00029F4E
	v_cvt_pkrtz_f16_f32 v76, v80, v81                          // 0000000072A8: D296004C 0002A350
	v_cvt_pkrtz_f16_f32 v77, v82, v83                          // 0000000072B0: D296004D 0002A752
	v_mfma_f32_16x16x16_f16 v[212:215], v[122:123], v[146:147], v[212:215]// 0000000072B8: D3CD00D4 0753257A
	v_mov_b32_dpp v16, v75 quad_perm:[1,0,3,2] row_mask:0xf bank_mask:0xf// 0000000072C0: 7E2002FA FF00B14B
	v_perm_b32 v51, v16, v75, v15                              // 0000000072C8: D1ED0033 043E9710
	v_mov_b32_dpp v16, v76 quad_perm:[1,0,3,2] row_mask:0xf bank_mask:0xf// 0000000072D0: 7E2002FA FF00B14C
	v_mfma_f32_16x16x16_f16 v[216:219], v[108:109], v[148:149], v[216:219]// 0000000072D8: D3CD00D8 0763296C
	v_perm_b32 v52, v16, v76, v15                              // 0000000072E0: D1ED0034 043E9910
	v_mov_b32_dpp v16, v77 quad_perm:[1,0,3,2] row_mask:0xf bank_mask:0xf// 0000000072E8: 7E2002FA FF00B14D
	v_perm_b32 v53, v16, v77, v15                              // 0000000072F0: D1ED0035 043E9B10
	v_mfma_f32_16x16x16_f16 v[220:223], v[110:111], v[148:149], v[220:223]// 0000000072F8: D3CD00DC 0773296E
	ds_write_b32 v18, v51 offset:20256                         // 000000007300: D81A4F20 00003312
	v_mfma_f32_16x16x16_f16 v[224:227], v[112:113], v[148:149], v[224:227]// 000000007308: D3CD00E0 07832970
	v_mfma_f32_16x16x16_f16 v[228:231], v[114:115], v[148:149], v[228:231]// 000000007310: D3CD00E4 07932972
	ds_write_b32 v18, v52 offset:22016                         // 000000007318: D81A5600 00003412
	ds_write_b32 v18, v53 offset:22560                         // 000000007320: D81A5820 00003512
	v_mfma_f32_16x16x16_f16 v[232:235], v[116:117], v[148:149], v[232:235]// 000000007328: D3CD00E8 07A32974
	v_mfma_f32_16x16x16_f16 v[236:239], v[118:119], v[148:149], v[236:239]// 000000007330: D3CD00EC 07B32976
	ds_write_b32 v13, v84 offset:4352                          // 000000007338: D81A1100 0000540D
	ds_write_b32 v13, v85 offset:5408                          // 000000007340: D81A1520 0000550D
	v_mfma_f32_16x16x16_f16 v[240:243], v[120:121], v[148:149], v[240:243]// 000000007348: D3CD00F0 07C32978
	s_nop 0                                                    // 000000007350: BF800000
	s_nop 0                                                    // 000000007354: BF800000
	;; [unrolled: 1-line block ×3, first 2 shown]
	v_mfma_f32_16x16x16_f16 v[244:247], v[122:123], v[148:149], v[244:247]// 00000000735C: D3CD00F4 07D3297A
	ds_write_b32 v13, v86 offset:4480                          // 000000007364: D81A1180 0000560D
	ds_write_b32 v13, v87 offset:5536                          // 00000000736C: D81A15A0 0000570D
	s_barrier                                                  // 000000007374: BF8A0000
	v_mfma_f32_16x16x16_f16 a[160:163], a[144:145], v[72:73], a[160:163]// 000000007378: D3CD80A0 0E829190
	buffer_atomic_add_f32 v136, v7, s[32:35], 0 offen          // 000000007380: E1341000 80088807
	v_mfma_f32_16x16x16_f16 a[164:167], a[146:147], v[72:73], a[164:167]// 000000007388: D3CD80A4 0E929192
	ds_read_b32 v124, v21 offset:50688                         // 000000007390: D86CC600 7C000015
	ds_read_b32 v150, v21 offset:50944                         // 000000007398: D86CC700 96000015
	v_mfma_f32_16x16x16_f16 a[168:171], a[148:149], v[72:73], a[168:171]// 0000000073A0: D3CD80A8 0EA29194
	s_waitcnt lgkmcnt(6)                                       // 0000000073A8: BF8CC67F
	s_barrier                                                  // 0000000073AC: BF8A0000
	v_mfma_f32_16x16x16_f16 a[172:175], a[150:151], v[72:73], a[172:175]// 0000000073B0: D3CD80AC 0EB29196
	ds_read_b128 v[48:51], v17 offset:17408                    // 0000000073B8: D9FE4400 30000011
	v_mfma_f32_16x16x16_f16 a[176:179], a[152:153], v[72:73], a[176:179]// 0000000073C0: D3CD80B0 0EC29198
	v_mfma_f32_16x16x16_f16 a[180:183], a[154:155], v[72:73], a[180:183]// 0000000073C8: D3CD80B4 0ED2919A
	ds_read_b128 v[52:55], v17 offset:18560                    // 0000000073D0: D9FE4880 34000011
	v_mfma_f32_16x16x16_f16 a[184:187], a[156:157], v[72:73], a[184:187]// 0000000073D8: D3CD80B8 0EE2919C
	buffer_atomic_add_f32 v137, v8, s[32:35], 0 offen          // 0000000073E0: E1341000 80088908
	v_mfma_f32_16x16x16_f16 a[188:191], a[158:159], v[72:73], a[188:191]// 0000000073E8: D3CD80BC 0EF2919E
	ds_read_b128 v[56:59], v17 offset:19712                    // 0000000073F0: D9FE4D00 38000011
	v_mfma_f32_16x16x16_f16 a[192:195], a[144:145], v[74:75], a[192:195]// 0000000073F8: D3CD80C0 0F029590
	v_mfma_f32_16x16x16_f16 a[196:199], a[146:147], v[74:75], a[196:199]// 000000007400: D3CD80C4 0F129592
	ds_read_b128 v[60:63], v17 offset:20864                    // 000000007408: D9FE5180 3C000011
	v_mfma_f32_16x16x16_f16 a[200:203], a[148:149], v[74:75], a[200:203]// 000000007410: D3CD80C8 0F229594
	v_mfma_f32_16x16x16_f16 a[204:207], a[150:151], v[74:75], a[204:207]// 000000007418: D3CD80CC 0F329596
	ds_read_b128 v[64:67], v17 offset:22016                    // 000000007420: D9FE5600 40000011
	v_mfma_f32_16x16x16_f16 a[208:211], a[152:153], v[74:75], a[208:211]// 000000007428: D3CD80D0 0F429598
	buffer_atomic_add_f32 v138, v7, s[32:35], 0 offen offset:128// 000000007430: E1341080 80088A07
	v_mfma_f32_16x16x16_f16 a[212:215], a[154:155], v[74:75], a[212:215]// 000000007438: D3CD80D4 0F52959A
	ds_read_b128 v[68:71], v17 offset:23168                    // 000000007440: D9FE5A80 44000011
	v_mfma_f32_16x16x16_f16 a[216:219], a[156:157], v[74:75], a[216:219]// 000000007448: D3CD80D8 0F62959C
	v_mfma_f32_16x16x16_f16 a[220:223], a[158:159], v[74:75], a[220:223]// 000000007450: D3CD80DC 0F72959E
	ds_write_b32 v13, v88 offset:13056                         // 000000007458: D81A3300 0000580D
	v_mfma_f32_16x16x16_f16 a[224:227], a[144:145], v[76:77], a[224:227]// 000000007460: D3CD80E0 0F829990
	v_mfma_f32_16x16x16_f16 a[228:231], a[146:147], v[76:77], a[228:231]// 000000007468: D3CD80E4 0F929992
	ds_write_b32 v13, v89 offset:14112                         // 000000007470: D81A3720 0000590D
	v_mfma_f32_16x16x16_f16 a[232:235], a[148:149], v[76:77], a[232:235]// 000000007478: D3CD80E8 0FA29994
	buffer_atomic_add_f32 v139, v8, s[32:35], 0 offen offset:128// 000000007480: E1341080 80088B08
	v_mfma_f32_16x16x16_f16 a[236:239], a[150:151], v[76:77], a[236:239]// 000000007488: D3CD80EC 0FB29996
	ds_write_b32 v13, v90 offset:13184                         // 000000007490: D81A3380 00005A0D
	v_mfma_f32_16x16x16_f16 a[240:243], a[152:153], v[76:77], a[240:243]// 000000007498: D3CD80F0 0FC29998
	v_mfma_f32_16x16x16_f16 a[244:247], a[154:155], v[76:77], a[244:247]// 0000000074A0: D3CD80F4 0FD2999A
	ds_write_b32 v13, v91 offset:14240                         // 0000000074A8: D81A37A0 00005B0D
	v_mfma_f32_16x16x16_f16 a[248:251], a[156:157], v[76:77], a[248:251]// 0000000074B0: D3CD80F8 0FE2999C
	v_mfma_f32_16x16x16_f16 a[252:255], a[158:159], v[76:77], a[252:255]// 0000000074B8: D3CD80FC 0FF2999E
	s_waitcnt vmcnt(8) lgkmcnt(4)                              // 0000000074C0: BF8C0478
	s_barrier                                                  // 0000000074C4: BF8A0000
	v_mfma_f32_16x16x16_f16 v[128:131], v[48:49], a[48:49], 0  // 0000000074C8: D3CD0080 12026130
	v_mul_f32_e32 v124, s48, v124                              // 0000000074D0: 0AF8F830
	s_nop 0                                                    // 0000000074D4: BF800000
	v_mfma_f32_16x16x16_f16 v[128:131], v[50:51], a[52:53], v[128:131]// 0000000074D8: D3CD0080 16026932
	ds_read_b128 a[144:147], v10                               // 0000000074E0: DBFE0000 9000000A
	buffer_load_dword v32, v1, s[8:11], 0 idxen                // 0000000074E8: E0502000 80022001
	v_mfma_f32_16x16x16_f16 v[128:131], v[52:53], a[56:57], v[128:131]// 0000000074F0: D3CD0080 16027134
	v_mfma_f32_16x16x16_f16 v[128:131], v[54:55], a[60:61], v[128:131]// 0000000074F8: D3CD0080 16027936
	ds_read_b128 a[148:151], v10 offset:512                    // 000000007500: DBFE0200 9400000A
	buffer_load_dword v33, v2, s[8:11], 0 idxen                // 000000007508: E0502000 80022102
	v_mfma_f32_16x16x16_f16 v[128:131], v[56:57], a[64:65], v[128:131]// 000000007510: D3CD0080 16028138
	v_perm_b32 v84, v37, v36, s63                              // 000000007518: D1ED0054 00FE4925
	v_perm_b32 v85, v37, v36, s64                              // 000000007520: D1ED0055 01024925
	v_mfma_f32_16x16x16_f16 v[128:131], v[58:59], a[68:69], v[128:131]// 000000007528: D3CD0080 1602893A
	ds_read_b128 a[152:155], v10 offset:2176                   // 000000007530: DBFE0880 9800000A
	buffer_load_dword v34, v3, s[8:11], 0 idxen                // 000000007538: E0502000 80022203
	v_mfma_f32_16x16x16_f16 v[128:131], v[60:61], a[72:73], v[128:131]// 000000007540: D3CD0080 1602913C
	v_perm_b32 v86, v39, v38, s63                              // 000000007548: D1ED0056 00FE4D27
	v_perm_b32 v87, v39, v38, s64                              // 000000007550: D1ED0057 01024D27
	v_mfma_f32_16x16x16_f16 v[128:131], v[62:63], a[76:77], v[128:131]// 000000007558: D3CD0080 1602993E
	ds_read_b128 a[156:159], v10 offset:2688                   // 000000007560: DBFE0A80 9C00000A
	buffer_load_dword v35, v4, s[8:11], 0 idxen                // 000000007568: E0502000 80022304
	v_mfma_f32_16x16x16_f16 v[128:131], v[64:65], a[80:81], v[128:131]// 000000007570: D3CD0080 1602A140
	v_perm_b32 v88, v45, v44, s63                              // 000000007578: D1ED0058 00FE592D
	v_perm_b32 v89, v45, v44, s64                              // 000000007580: D1ED0059 0102592D
	v_mfma_f32_16x16x16_f16 v[128:131], v[66:67], a[84:85], v[128:131]// 000000007588: D3CD0080 1602A942
	ds_read_b128 v[92:95], v10 offset:8704                     // 000000007590: D9FE2200 5C00000A
	buffer_load_dword v40, v248, s[20:23], 0 idxen             // 000000007598: E0502000 800528F8
	v_mfma_f32_16x16x16_f16 v[128:131], v[68:69], a[88:89], v[128:131]// 0000000075A0: D3CD0080 1602B144
	v_perm_b32 v90, v47, v46, s63                              // 0000000075A8: D1ED005A 00FE5D2F
	v_perm_b32 v91, v47, v46, s64                              // 0000000075B0: D1ED005B 01025D2F
	v_mfma_f32_16x16x16_f16 v[128:131], v[70:71], a[92:93], v[128:131]// 0000000075B8: D3CD0080 1602B946
	ds_read_b128 v[96:99], v10 offset:9216                     // 0000000075C0: D9FE2400 6000000A
	buffer_load_dword v41, v249, s[20:23], 0 idxen             // 0000000075C8: E0502000 800529F9
	v_mfma_f32_16x16x16_f16 v[132:135], v[48:49], a[50:51], 0  // 0000000075D0: D3CD0084 12026530
	v_mov_b32_dpp v127, v124 quad_perm:[3,3,3,3] row_mask:0xf bank_mask:0xf// 0000000075D8: 7EFE02FA FF00FF7C
	v_mov_b32_dpp v126, v124 quad_perm:[2,2,2,2] row_mask:0xf bank_mask:0xf// 0000000075E0: 7EFC02FA FF00AA7C
	v_mfma_f32_16x16x16_f16 v[132:135], v[50:51], a[54:55], v[132:135]// 0000000075E8: D3CD0084 16126D32
	ds_read_b128 v[100:103], v10 offset:10880                  // 0000000075F0: D9FE2A80 6400000A
	buffer_load_dword v42, v250, s[20:23], 0 idxen             // 0000000075F8: E0502000 80052AFA
	v_mfma_f32_16x16x16_f16 v[132:135], v[52:53], a[58:59], v[132:135]// 000000007600: D3CD0084 16127534
	v_mov_b32_dpp v125, v124 quad_perm:[1,1,1,1] row_mask:0xf bank_mask:0xf// 000000007608: 7EFA02FA FF00557C
	v_mov_b32_dpp v124, v124 quad_perm:[0,0,0,0] row_mask:0xf bank_mask:0xf// 000000007610: 7EF802FA FF00007C
	s_add_u32 s60, 64, s59                                     // 000000007618: 803C3BC0
	v_mfma_f32_16x16x16_f16 v[132:135], v[54:55], a[62:63], v[132:135]// 00000000761C: D3CD0084 16127D36
	ds_read_b128 v[104:107], v10 offset:11392                  // 000000007624: D9FE2C80 6800000A
	buffer_load_dword v43, v251, s[20:23], 0 idxen             // 00000000762C: E0502000 80052BFB
	v_mfma_f32_16x16x16_f16 v[132:135], v[56:57], a[66:67], v[132:135]// 000000007634: D3CD0084 16128538
	s_cmp_lt_u32 s60, s58                                      // 00000000763C: BF0A3A3C
	s_cselect_b32 s68, s68, 0                                  // 000000007640: 85448044
	s_cselect_b32 s100, s100, 0                                // 000000007644: 85648064
	s_cselect_b32 s69, s69, 0                                  // 000000007648: 85458045
	v_mfma_f32_16x16x16_f16 v[132:135], v[58:59], a[70:71], v[132:135]// 00000000764C: D3CD0084 16128D3A
	buffer_load_dword v9, s[24:27], 0 idxen lds                // 000000007654: E0512000 80060009
	v_mfma_f32_16x16x16_f16 v[132:135], v[60:61], a[74:75], v[132:135]// 00000000765C: D3CD0084 1612953C
	v_add_u32_e32 v1, s68, v1                                  // 000000007664: 68020244
	v_add_u32_e32 v2, s68, v2                                  // 000000007668: 68040444
	v_add_u32_e32 v3, s68, v3                                  // 00000000766C: 68060644
	v_add_u32_e32 v4, s68, v4                                  // 000000007670: 68080844
	v_mfma_f32_16x16x16_f16 v[132:135], v[62:63], a[78:79], v[132:135]// 000000007674: D3CD0084 16129D3E
	v_add_u32_e32 v248, s100, v248                             // 00000000767C: 69F1F064
	v_add_u32_e32 v249, s100, v249                             // 000000007680: 69F3F264
	v_add_u32_e32 v250, s100, v250                             // 000000007684: 69F5F464
	v_add_u32_e32 v251, s100, v251                             // 000000007688: 69F7F664
	v_mfma_f32_16x16x16_f16 v[132:135], v[64:65], a[82:83], v[132:135]// 00000000768C: D3CD0084 1612A540
	s_mov_b32 m0, s79                                          // 000000007694: BEFC004F
	v_add_u32_e32 v9, s69, v9                                  // 000000007698: 68121245
	v_mfma_f32_16x16x16_f16 v[132:135], v[66:67], a[86:87], v[132:135]// 00000000769C: D3CD0084 1612AD42
	s_cmp_ge_u32 s59, s73                                      // 0000000076A4: BF09493B
	s_cselect_b32 s66, s67, s66                                // 0000000076A8: 85424243
	v_mfma_f32_16x16x16_f16 v[132:135], v[68:69], a[90:91], v[132:135]// 0000000076AC: D3CD0084 1612B544
	s_addk_i32 s59, 0x10                                       // 0000000076B4: B73B0010
	s_nop 0                                                    // 0000000076B8: BF800000
	s_cmp_lt_i32 s59, s58                                      // 0000000076BC: BF043A3B
	v_mfma_f32_16x16x16_f16 v[132:135], v[70:71], a[94:95], v[132:135]// 0000000076C0: D3CD0084 1612BD46
	s_cbranch_scc0 label_0E3E                                  // 0000000076C8: BF840001
	s_branch label_0895                                        // 0000000076CC: BF82FA61

00000000000076d0 <label_0E3E>:
	s_nop 0                                                    // 0000000076D0: BF800000
	s_nop 0                                                    // 0000000076D4: BF800000
	s_nop 0                                                    // 0000000076D8: BF800000
	s_nop 0                                                    // 0000000076DC: BF800000
	s_nop 0                                                    // 0000000076E0: BF800000
	s_nop 0                                                    // 0000000076E4: BF800000
	s_branch label_13EE                                        // 0000000076E8: BF82059F

00000000000076ec <label_0E45>:
	s_waitcnt lgkmcnt(0)                                       // 0000000076EC: BF8CC07F
	s_barrier                                                  // 0000000076F0: BF8A0000
	v_mfma_f32_16x16x16_f16 v[48:51], a[144:145], a[0:1], 0    // 0000000076F4: D3CD0030 1A020190
	v_mul_f32_e32 v128, s47, v128                              // 0000000076FC: 0B01002F
	v_mul_f32_e32 v129, s47, v129                              // 000000007700: 0B03022F
	v_mfma_f32_16x16x16_f16 v[48:51], a[146:147], a[2:3], v[48:51]// 000000007704: D3CD0030 1CC20592
	ds_write_b32 v11, v44 offset:8704                          // 00000000770C: D81A2200 00002C0B
	ds_write_b32 v11, v45 offset:9760                          // 000000007714: D81A2620 00002D0B
	v_mfma_f32_16x16x16_f16 v[48:51], a[148:149], a[4:5], v[48:51]// 00000000771C: D3CD0030 1CC20994
	v_mul_f32_e32 v130, s47, v130                              // 000000007724: 0B05042F
	v_mul_f32_e32 v131, s47, v131                              // 000000007728: 0B07062F
	v_mfma_f32_16x16x16_f16 v[48:51], a[150:151], a[6:7], v[48:51]// 00000000772C: D3CD0030 1CC20D96
	ds_write_b32 v11, v46 offset:8832                          // 000000007734: D81A2280 00002E0B
	ds_write_b32 v11, v47 offset:9888                          // 00000000773C: D81A26A0 00002F0B
	v_mfma_f32_16x16x16_f16 v[48:51], a[152:153], a[8:9], v[48:51]// 000000007744: D3CD0030 1CC21198
	v_mul_f32_e32 v132, s47, v132                              // 00000000774C: 0B09082F
	v_mul_f32_e32 v133, s47, v133                              // 000000007750: 0B0B0A2F
	v_mfma_f32_16x16x16_f16 v[48:51], a[154:155], a[10:11], v[48:51]// 000000007754: D3CD0030 1CC2159A
	ds_write_b64 v20, v[128:129] offset:24320                  // 00000000775C: D89A5F00 00008014
	v_mfma_f32_16x16x16_f16 v[48:51], a[156:157], a[12:13], v[48:51]// 000000007764: D3CD0030 1CC2199C
	v_mul_f32_e32 v134, s47, v134                              // 00000000776C: 0B0D0C2F
	v_mul_f32_e32 v135, s47, v135                              // 000000007770: 0B0F0E2F
	v_mfma_f32_16x16x16_f16 v[48:51], a[158:159], a[14:15], v[48:51]// 000000007774: D3CD0030 1CC21D9E
	ds_write_b64 v20, v[130:131] offset:24832                  // 00000000777C: D89A6100 00008214
	v_mfma_f32_16x16x16_f16 v[52:55], a[144:145], a[16:17], 0  // 000000007784: D3CD0034 1A022190
	buffer_atomic_add_f32 v140, v7, s[32:35], 0 offen offset:256// 00000000778C: E1341100 80088C07
	v_mfma_f32_16x16x16_f16 v[52:55], a[146:147], a[18:19], v[52:55]// 000000007794: D3CD0034 1CD22592
	ds_write_b64 v20, v[132:133] offset:25344                  // 00000000779C: D89A6300 00008414
	v_mfma_f32_16x16x16_f16 v[52:55], a[148:149], a[20:21], v[52:55]// 0000000077A4: D3CD0034 1CD22994
	v_mfma_f32_16x16x16_f16 v[52:55], a[150:151], a[22:23], v[52:55]// 0000000077AC: D3CD0034 1CD22D96
	ds_write_b64 v20, v[134:135] offset:25856                  // 0000000077B4: D89A6500 00008614
	v_mfma_f32_16x16x16_f16 v[52:55], a[152:153], a[24:25], v[52:55]// 0000000077BC: D3CD0034 1CD23198
	buffer_atomic_add_f32 v141, v8, s[32:35], 0 offen offset:256// 0000000077C4: E1341100 80088D08
	v_mfma_f32_16x16x16_f16 v[52:55], a[154:155], a[26:27], v[52:55]// 0000000077CC: D3CD0034 1CD2359A
	ds_read_b128 v[108:111], v12 offset:13056                  // 0000000077D4: D9FE3300 6C00000C
	ds_write_b32 v11, v36                                      // 0000000077DC: D81A0000 0000240B
	v_mfma_f32_16x16x16_f16 v[52:55], a[156:157], a[28:29], v[52:55]// 0000000077E4: D3CD0034 1CD2399C
	v_mfma_f32_16x16x16_f16 v[52:55], a[158:159], a[30:31], v[52:55]// 0000000077EC: D3CD0034 1CD23D9E
	v_mfma_f32_16x16x16_f16 v[56:59], a[144:145], a[32:33], 0  // 0000000077F4: D3CD0038 1A024190
	ds_read_b128 v[112:115], v12 offset:13568                  // 0000000077FC: D9FE3500 7000000C
	ds_write_b32 v11, v37 offset:1056                          // 000000007804: D81A0420 0000250B
	v_mfma_f32_16x16x16_f16 v[56:59], a[146:147], a[34:35], v[56:59]// 00000000780C: D3CD0038 1CE24592
	buffer_atomic_add_f32 v142, v7, s[32:35], 0 offen offset:384// 000000007814: E1341180 80088E07
	v_mfma_f32_16x16x16_f16 v[56:59], a[148:149], a[36:37], v[56:59]// 00000000781C: D3CD0038 1CE24994
	v_mfma_f32_16x16x16_f16 v[56:59], a[150:151], a[38:39], v[56:59]// 000000007824: D3CD0038 1CE24D96
	ds_read_b128 v[116:119], v12 offset:15232                  // 00000000782C: D9FE3B80 7400000C
	ds_write_b32 v11, v38 offset:128                           // 000000007834: D81A0080 0000260B
	v_mfma_f32_16x16x16_f16 v[56:59], a[152:153], a[40:41], v[56:59]// 00000000783C: D3CD0038 1CE25198
	v_mfma_f32_16x16x16_f16 v[56:59], a[154:155], a[42:43], v[56:59]// 000000007844: D3CD0038 1CE2559A
	buffer_atomic_add_f32 v143, v8, s[32:35], 0 offen offset:384// 00000000784C: E1341180 80088F08
	v_mfma_f32_16x16x16_f16 v[56:59], a[156:157], a[44:45], v[56:59]// 000000007854: D3CD0038 1CE2599C
	ds_read_b128 v[120:123], v12 offset:15744                  // 00000000785C: D9FE3D80 7800000C
	ds_write_b32 v11, v39 offset:1184                          // 000000007864: D81A04A0 0000270B
	v_mfma_f32_16x16x16_f16 v[56:59], a[158:159], a[46:47], v[56:59]// 00000000786C: D3CD0038 1CE25D9E
	s_cmp_eq_i32 s82, 0                                        // 000000007874: BF008052
	s_cbranch_scc1 label_0F3D                                  // 000000007878: BF85008F
	s_cmp_lt_i32 s74, 12                                       // 00000000787C: BF048C4A
	s_cbranch_scc0 label_0EE8                                  // 000000007880: BF84003D
	s_lshl_b32 s60, s74, 4                                     // 000000007884: 8E3C844A
	v_sub_i32 v28, v252, s60                                   // 000000007888: D29D001C 000079FC
	s_mov_b32 s61, 0                                           // 000000007890: BEBD0080
	v_add_i32 v29, v28, s61                                    // 000000007894: D29C001D 00007B1C
	v_cmp_gt_i32_e64 s[88:89], v29, 0                          // 00000000789C: D0C40058 0001011D
	v_cmp_gt_i32_e64 s[92:93], v29, 1                          // 0000000078A4: D0C4005C 0001031D
	v_cndmask_b32_e64 v48, v48, v151, s[88:89]                 // 0000000078AC: D1000030 01632F30
	v_cndmask_b32_e64 v49, v49, v151, s[92:93]                 // 0000000078B4: D1000031 01732F31
	v_cmp_gt_i32_e64 s[88:89], v29, 2                          // 0000000078BC: D0C40058 0001051D
	v_cmp_gt_i32_e64 s[92:93], v29, 3                          // 0000000078C4: D0C4005C 0001071D
	v_cndmask_b32_e64 v50, v50, v151, s[88:89]                 // 0000000078CC: D1000032 01632F32
	v_cndmask_b32_e64 v51, v51, v151, s[92:93]                 // 0000000078D4: D1000033 01732F33
	s_mov_b32 s61, 64                                          // 0000000078DC: BEBD00C0
	v_add_i32 v29, v28, s61                                    // 0000000078E0: D29C001D 00007B1C
	v_cmp_gt_i32_e64 s[88:89], v29, 0                          // 0000000078E8: D0C40058 0001011D
	v_cmp_gt_i32_e64 s[92:93], v29, 1                          // 0000000078F0: D0C4005C 0001031D
	v_cndmask_b32_e64 v52, v52, v151, s[88:89]                 // 0000000078F8: D1000034 01632F34
	v_cndmask_b32_e64 v53, v53, v151, s[92:93]                 // 000000007900: D1000035 01732F35
	v_cmp_gt_i32_e64 s[88:89], v29, 2                          // 000000007908: D0C40058 0001051D
	v_cmp_gt_i32_e64 s[92:93], v29, 3                          // 000000007910: D0C4005C 0001071D
	v_cndmask_b32_e64 v54, v54, v151, s[88:89]                 // 000000007918: D1000036 01632F36
	v_cndmask_b32_e64 v55, v55, v151, s[92:93]                 // 000000007920: D1000037 01732F37
	s_mov_b32 s61, 0x80                                        // 000000007928: BEBD00FF 00000080
	v_add_i32 v29, v28, s61                                    // 000000007930: D29C001D 00007B1C
	v_cmp_gt_i32_e64 s[88:89], v29, 0                          // 000000007938: D0C40058 0001011D
	v_cmp_gt_i32_e64 s[92:93], v29, 1                          // 000000007940: D0C4005C 0001031D
	v_cndmask_b32_e64 v56, v56, v151, s[88:89]                 // 000000007948: D1000038 01632F38
	v_cndmask_b32_e64 v57, v57, v151, s[92:93]                 // 000000007950: D1000039 01732F39
	v_cmp_gt_i32_e64 s[88:89], v29, 2                          // 000000007958: D0C40058 0001051D
	v_cmp_gt_i32_e64 s[92:93], v29, 3                          // 000000007960: D0C4005C 0001071D
	v_cndmask_b32_e64 v58, v58, v151, s[88:89]                 // 000000007968: D100003A 01632F3A
	v_cndmask_b32_e64 v59, v59, v151, s[92:93]                 // 000000007970: D100003B 01732F3B

0000000000007978 <label_0EE8>:
	s_cmp_lt_i32 s84, 0xc0                                     // 000000007978: BF04FF54 000000C0
	s_cbranch_scc0 label_0F3D                                  // 000000007980: BF84004D
	s_cmp_le_i32 s84, 64                                       // 000000007984: BF05C054
	s_cbranch_scc1 label_0EF4                                  // 000000007988: BF850007
	s_cmp_le_i32 s84, 0x80                                     // 00000000798C: BF05FF54 00000080
	s_cbranch_scc1 label_0F0C                                  // 000000007994: BF850017
	s_cmp_lt_i32 s84, 0xc0                                     // 000000007998: BF04FF54 000000C0
	s_cbranch_scc1 label_0F24                                  // 0000000079A0: BF85002C
	s_branch label_0F3D                                        // 0000000079A4: BF820044

00000000000079a8 <label_0EF4>:
	s_mov_b32 s60, 0                                           // 0000000079A8: BEBC0080
	v_and_b32_e32 v28, 15, v0                                  // 0000000079AC: 2638008F
	v_add_u32_e64 v28, v28, s60                                // 0000000079B0: D134001C 0000791C
	v_mul_i32_i24_e64 v29, s46, 16                             // 0000000079B8: D106001D 0001202E
	v_add_u32_e32 v28, v28, v29                                // 0000000079C0: 68383B1C
	v_cmp_lt_u32_e64 s[60:61], v28, s84                        // 0000000079C4: D0C9003C 0000A91C
	s_nop 1                                                    // 0000000079CC: BF800001
	v_cndmask_b32_e64 v48, v151, v48, s[60:61]                 // 0000000079D0: D1000030 00F26197
	v_cndmask_b32_e64 v49, v151, v49, s[60:61]                 // 0000000079D8: D1000031 00F26397
	v_cndmask_b32_e64 v50, v151, v50, s[60:61]                 // 0000000079E0: D1000032 00F26597
	v_cndmask_b32_e64 v51, v151, v51, s[60:61]                 // 0000000079E8: D1000033 00F26797
	s_branch label_0F1F                                        // 0000000079F0: BF820013

00000000000079f4 <label_0F0C>:
	s_mov_b32 s60, 64                                          // 0000000079F4: BEBC00C0
	v_and_b32_e32 v28, 15, v0                                  // 0000000079F8: 2638008F
	v_add_u32_e64 v28, v28, s60                                // 0000000079FC: D134001C 0000791C
	v_mul_i32_i24_e64 v29, s46, 16                             // 000000007A04: D106001D 0001202E
	v_add_u32_e32 v28, v28, v29                                // 000000007A0C: 68383B1C
	v_cmp_lt_u32_e64 s[60:61], v28, s84                        // 000000007A10: D0C9003C 0000A91C
	s_nop 1                                                    // 000000007A18: BF800001
	v_cndmask_b32_e64 v52, v151, v52, s[60:61]                 // 000000007A1C: D1000034 00F26997
	v_cndmask_b32_e64 v53, v151, v53, s[60:61]                 // 000000007A24: D1000035 00F26B97
	v_cndmask_b32_e64 v54, v151, v54, s[60:61]                 // 000000007A2C: D1000036 00F26D97
	v_cndmask_b32_e64 v55, v151, v55, s[60:61]                 // 000000007A34: D1000037 00F26F97
	s_branch label_0F38                                        // 000000007A3C: BF820019

0000000000007a40 <label_0F1F>:
	v_mov_b32_e32 v52, v151                                    // 000000007A40: 7E680397
	v_mov_b32_e32 v53, v151                                    // 000000007A44: 7E6A0397
	v_mov_b32_e32 v54, v151                                    // 000000007A48: 7E6C0397
	v_mov_b32_e32 v55, v151                                    // 000000007A4C: 7E6E0397
	s_branch label_0F38                                        // 000000007A50: BF820014

0000000000007a54 <label_0F24>:
	s_mov_b32 s60, 0x80                                        // 000000007A54: BEBC00FF 00000080
	v_and_b32_e32 v28, 15, v0                                  // 000000007A5C: 2638008F
	v_add_u32_e64 v28, v28, s60                                // 000000007A60: D134001C 0000791C
	v_mul_i32_i24_e64 v29, s46, 16                             // 000000007A68: D106001D 0001202E
	v_add_u32_e32 v28, v28, v29                                // 000000007A70: 68383B1C
	v_cmp_lt_u32_e64 s[60:61], v28, s84                        // 000000007A74: D0C9003C 0000A91C
	s_nop 1                                                    // 000000007A7C: BF800001
	v_cndmask_b32_e64 v56, v151, v56, s[60:61]                 // 000000007A80: D1000038 00F27197
	v_cndmask_b32_e64 v57, v151, v57, s[60:61]                 // 000000007A88: D1000039 00F27397
	v_cndmask_b32_e64 v58, v151, v58, s[60:61]                 // 000000007A90: D100003A 00F27597
	v_cndmask_b32_e64 v59, v151, v59, s[60:61]                 // 000000007A98: D100003B 00F27797
	s_branch label_0F3D                                        // 000000007AA0: BF820005

0000000000007aa4 <label_0F38>:
	v_mov_b32_e32 v56, v151                                    // 000000007AA4: 7E700397
	v_mov_b32_e32 v57, v151                                    // 000000007AA8: 7E720397
	v_mov_b32_e32 v58, v151                                    // 000000007AAC: 7E740397
	v_mov_b32_e32 v59, v151                                    // 000000007AB0: 7E760397
	s_branch label_0F3D                                        // 000000007AB4: BF820000

0000000000007ab8 <label_0F3D>:
	s_addk_i32 s74, 0x1                                        // 000000007AB8: B74A0001
	s_waitcnt lgkmcnt(8)                                       // 000000007ABC: BF8CC87F
	s_barrier                                                  // 000000007AC0: BF8A0000
	v_mfma_f32_16x16x16_f16 v[72:75], v[92:93], a[96:97], 0    // 000000007AC4: D3CD0048 1202C15C
	v_fma_f32 v48, v48, s57, -v124                             // 000000007ACC: D1CB0030 85F07330
	v_fma_f32 v49, v49, s57, -v125                             // 000000007AD4: D1CB0031 85F47331
	v_fma_f32 v50, v50, s57, -v126                             // 000000007ADC: D1CB0032 85F87332
	v_mfma_f32_16x16x16_f16 v[72:75], v[94:95], a[98:99], v[72:75]// 000000007AE4: D3CD0048 1522C55E
	ds_read_b128 a[144:147], v12 offset:4352                   // 000000007AEC: DBFE1100 9000000C
	ds_read_b128 a[148:151], v12 offset:4864                   // 000000007AF4: DBFE1300 9400000C
	v_mfma_f32_16x16x16_f16 v[72:75], v[96:97], a[100:101], v[72:75]// 000000007AFC: D3CD0048 1522C960
	v_fma_f32 v51, v51, s57, -v127                             // 000000007B04: D1CB0033 85FC7333
	v_fma_f32 v52, v52, s57, -v124                             // 000000007B0C: D1CB0034 85F07334
	v_fma_f32 v53, v53, s57, -v125                             // 000000007B14: D1CB0035 85F47335
	v_mfma_f32_16x16x16_f16 v[72:75], v[98:99], a[102:103], v[72:75]// 000000007B1C: D3CD0048 1522CD62
	v_fma_f32 v54, v54, s57, -v126                             // 000000007B24: D1CB0036 85F87336
	v_fma_f32 v55, v55, s57, -v127                             // 000000007B2C: D1CB0037 85FC7337
	v_fma_f32 v56, v56, s57, -v124                             // 000000007B34: D1CB0038 85F07338
	v_mfma_f32_16x16x16_f16 v[72:75], v[100:101], a[104:105], v[72:75]// 000000007B3C: D3CD0048 1522D164
	v_fma_f32 v57, v57, s57, -v125                             // 000000007B44: D1CB0039 85F47339
	v_fma_f32 v58, v58, s57, -v126                             // 000000007B4C: D1CB003A 85F8733A
	v_fma_f32 v59, v59, s57, -v127                             // 000000007B54: D1CB003B 85FC733B
	v_mfma_f32_16x16x16_f16 v[72:75], v[102:103], a[106:107], v[72:75]// 000000007B5C: D3CD0048 1522D566
	ds_read_b128 a[152:155], v12 offset:6528                   // 000000007B64: DBFE1980 9800000C
	ds_read_b128 a[156:159], v12 offset:7040                   // 000000007B6C: DBFE1B80 9C00000C
	v_mfma_f32_16x16x16_f16 v[72:75], v[104:105], a[108:109], v[72:75]// 000000007B74: D3CD0048 1522D968
	v_exp_f32_e32 v48, v48                                     // 000000007B7C: 7E604130
	v_mfma_f32_16x16x16_f16 v[72:75], v[106:107], a[110:111], v[72:75]// 000000007B80: D3CD0048 1522DD6A
	v_exp_f32_e32 v49, v49                                     // 000000007B88: 7E624131
	v_mfma_f32_16x16x16_f16 v[76:79], v[92:93], a[112:113], 0  // 000000007B8C: D3CD004C 1202E15C
	v_exp_f32_e32 v50, v50                                     // 000000007B94: 7E644132
	v_mfma_f32_16x16x16_f16 v[76:79], v[94:95], a[114:115], v[76:79]// 000000007B98: D3CD004C 1532E55E
	ds_read_b64 v[136:137], v19 offset:24320                   // 000000007BA0: D8EC5F00 88000013
	ds_read_b64 v[138:139], v19 offset:26368                   // 000000007BA8: D8EC6700 8A000013
	v_mfma_f32_16x16x16_f16 v[76:79], v[96:97], a[116:117], v[76:79]// 000000007BB0: D3CD004C 1532E960
	v_exp_f32_e32 v51, v51                                     // 000000007BB8: 7E664133
	v_mfma_f32_16x16x16_f16 v[76:79], v[98:99], a[118:119], v[76:79]// 000000007BBC: D3CD004C 1532ED62
	ds_read_b64 v[140:141], v19 offset:28416                   // 000000007BC4: D8EC6F00 8C000013
	ds_read_b64 v[142:143], v19 offset:30464                   // 000000007BCC: D8EC7700 8E000013
	v_mfma_f32_16x16x16_f16 v[76:79], v[100:101], a[120:121], v[76:79]// 000000007BD4: D3CD004C 1532F164
	v_exp_f32_e32 v52, v52                                     // 000000007BDC: 7E684134
	v_mfma_f32_16x16x16_f16 v[76:79], v[102:103], a[122:123], v[76:79]// 000000007BE0: D3CD004C 1532F566
	v_exp_f32_e32 v53, v53                                     // 000000007BE8: 7E6A4135
	v_mfma_f32_16x16x16_f16 v[76:79], v[104:105], a[124:125], v[76:79]// 000000007BEC: D3CD004C 1532F968
	v_exp_f32_e32 v54, v54                                     // 000000007BF4: 7E6C4136
	v_mfma_f32_16x16x16_f16 v[76:79], v[106:107], a[126:127], v[76:79]// 000000007BF8: D3CD004C 1532FD6A
	v_exp_f32_e32 v55, v55                                     // 000000007C00: 7E6E4137
	v_mfma_f32_16x16x16_f16 v[80:83], v[92:93], a[128:129], 0  // 000000007C04: D3CD0050 1203015C
	v_exp_f32_e32 v56, v56                                     // 000000007C0C: 7E704138
	v_mfma_f32_16x16x16_f16 v[80:83], v[94:95], a[130:131], v[80:83]// 000000007C10: D3CD0050 1543055E
	v_exp_f32_e32 v57, v57                                     // 000000007C18: 7E724139
	v_mfma_f32_16x16x16_f16 v[80:83], v[96:97], a[132:133], v[80:83]// 000000007C1C: D3CD0050 15430960
	v_exp_f32_e32 v58, v58                                     // 000000007C24: 7E74413A
	v_mfma_f32_16x16x16_f16 v[80:83], v[98:99], a[134:135], v[80:83]// 000000007C28: D3CD0050 15430D62
	v_exp_f32_e32 v59, v59                                     // 000000007C30: 7E76413B
	v_mfma_f32_16x16x16_f16 v[80:83], v[100:101], a[136:137], v[80:83]// 000000007C34: D3CD0050 15431164
	v_cvt_pkrtz_f16_f32 v144, v48, v49                         // 000000007C3C: D2960090 00026330
	v_cvt_pkrtz_f16_f32 v145, v50, v51                         // 000000007C44: D2960091 00026732
	v_cvt_pkrtz_f16_f32 v146, v52, v53                         // 000000007C4C: D2960092 00026B34
	v_mfma_f32_16x16x16_f16 v[80:83], v[102:103], a[138:139], v[80:83]// 000000007C54: D3CD0050 15431566
	v_cvt_pkrtz_f16_f32 v147, v54, v55                         // 000000007C5C: D2960093 00026F36
	v_cvt_pkrtz_f16_f32 v148, v56, v57                         // 000000007C64: D2960094 00027338
	v_cvt_pkrtz_f16_f32 v149, v58, v59                         // 000000007C6C: D2960095 0002773A
	v_mfma_f32_16x16x16_f16 v[80:83], v[104:105], a[140:141], v[80:83]// 000000007C74: D3CD0050 15431968
	v_add_u32_e32 v7, s66, v7                                  // 000000007C7C: 680E0E42
	v_add_u32_e32 v8, s66, v8                                  // 000000007C80: 68101042
	v_mfma_f32_16x16x16_f16 v[80:83], v[106:107], a[142:143], v[80:83]// 000000007C84: D3CD0050 15431D6A
	s_waitcnt lgkmcnt(0)                                       // 000000007C8C: BF8CC07F
	s_barrier                                                  // 000000007C90: BF8A0000
	v_mfma_f32_16x16x16_f16 v[152:155], v[108:109], v[144:145], v[152:155]// 000000007C94: D3CD0098 0663216C
	v_subrev_f32_dpp v72, v150, v72 quad_perm:[0,0,0,0] row_mask:0xf bank_mask:0xf// 000000007C9C: 069090FA FF000096
	v_subrev_f32_dpp v73, v150, v73 quad_perm:[1,1,1,1] row_mask:0xf bank_mask:0xf// 000000007CA4: 069292FA FF005596
	v_subrev_f32_dpp v74, v150, v74 quad_perm:[2,2,2,2] row_mask:0xf bank_mask:0xf// 000000007CAC: 069494FA FF00AA96
	v_mfma_f32_16x16x16_f16 v[156:159], v[110:111], v[144:145], v[156:159]// 000000007CB4: D3CD009C 0673216E
	v_subrev_f32_dpp v75, v150, v75 quad_perm:[3,3,3,3] row_mask:0xf bank_mask:0xf// 000000007CBC: 069696FA FF00FF96
	v_subrev_f32_dpp v76, v150, v76 quad_perm:[0,0,0,0] row_mask:0xf bank_mask:0xf// 000000007CC4: 069898FA FF000096
	v_subrev_f32_dpp v77, v150, v77 quad_perm:[1,1,1,1] row_mask:0xf bank_mask:0xf// 000000007CCC: 069A9AFA FF005596
	v_mfma_f32_16x16x16_f16 v[160:163], v[112:113], v[144:145], v[160:163]// 000000007CD4: D3CD00A0 06832170
	v_mul_f32_e32 v72, v48, v72                                // 000000007CDC: 0A909130
	v_mul_f32_e32 v73, v49, v73                                // 000000007CE0: 0A929331
	v_mul_f32_e32 v74, v50, v74                                // 000000007CE4: 0A949532
	v_mfma_f32_16x16x16_f16 v[164:167], v[114:115], v[144:145], v[164:167]// 000000007CE8: D3CD00A4 06932172
	v_mul_f32_e32 v75, v51, v75                                // 000000007CF0: 0A969733
	v_mul_f32_e32 v76, v52, v76                                // 000000007CF4: 0A989934
	v_mul_f32_e32 v77, v53, v77                                // 000000007CF8: 0A9A9B35
	v_mfma_f32_16x16x16_f16 v[168:171], v[116:117], v[144:145], v[168:171]// 000000007CFC: D3CD00A8 06A32174
	v_cvt_pkrtz_f16_f32 v72, v72, v73                          // 000000007D04: D2960048 00029348
	v_cvt_pkrtz_f16_f32 v73, v74, v75                          // 000000007D0C: D2960049 0002974A
	v_cvt_pkrtz_f16_f32 v74, v76, v77                          // 000000007D14: D296004A 00029B4C
	v_mfma_f32_16x16x16_f16 v[172:175], v[118:119], v[144:145], v[172:175]// 000000007D1C: D3CD00AC 06B32176
	v_mov_b32_dpp v16, v72 quad_perm:[1,0,3,2] row_mask:0xf bank_mask:0xf// 000000007D24: 7E2002FA FF00B148
	v_perm_b32 v48, v16, v72, v15                              // 000000007D2C: D1ED0030 043E9110
	v_mov_b32_dpp v16, v73 quad_perm:[1,0,3,2] row_mask:0xf bank_mask:0xf// 000000007D34: 7E2002FA FF00B149
	v_mfma_f32_16x16x16_f16 v[176:179], v[120:121], v[144:145], v[176:179]// 000000007D3C: D3CD00B0 06C32178
	ds_write_b32 v18, v48 offset:17408                         // 000000007D44: D81A4400 00003012
	v_mfma_f32_16x16x16_f16 v[180:183], v[122:123], v[144:145], v[180:183]// 000000007D4C: D3CD00B4 06D3217A
	v_perm_b32 v49, v16, v73, v15                              // 000000007D54: D1ED0031 043E9310
	v_mov_b32_dpp v16, v74 quad_perm:[1,0,3,2] row_mask:0xf bank_mask:0xf// 000000007D5C: 7E2002FA FF00B14A
	v_perm_b32 v50, v16, v74, v15                              // 000000007D64: D1ED0032 043E9510
	v_mfma_f32_16x16x16_f16 v[184:187], v[108:109], v[146:147], v[184:187]// 000000007D6C: D3CD00B8 06E3256C
	ds_write_b32 v18, v49 offset:17952                         // 000000007D74: D81A4620 00003112
	v_mfma_f32_16x16x16_f16 v[188:191], v[110:111], v[146:147], v[188:191]// 000000007D7C: D3CD00BC 06F3256E
	v_subrev_f32_dpp v78, v150, v78 quad_perm:[2,2,2,2] row_mask:0xf bank_mask:0xf// 000000007D84: 069C9CFA FF00AA96
	v_subrev_f32_dpp v79, v150, v79 quad_perm:[3,3,3,3] row_mask:0xf bank_mask:0xf// 000000007D8C: 069E9EFA FF00FF96
	v_subrev_f32_dpp v80, v150, v80 quad_perm:[0,0,0,0] row_mask:0xf bank_mask:0xf// 000000007D94: 06A0A0FA FF000096
	v_mfma_f32_16x16x16_f16 v[192:195], v[112:113], v[146:147], v[192:195]// 000000007D9C: D3CD00C0 07032570
	ds_write_b32 v18, v50 offset:19712                         // 000000007DA4: D81A4D00 00003212
	v_mfma_f32_16x16x16_f16 v[196:199], v[114:115], v[146:147], v[196:199]// 000000007DAC: D3CD00C4 07132572
	v_subrev_f32_dpp v81, v150, v81 quad_perm:[1,1,1,1] row_mask:0xf bank_mask:0xf// 000000007DB4: 06A2A2FA FF005596
	v_subrev_f32_dpp v82, v150, v82 quad_perm:[2,2,2,2] row_mask:0xf bank_mask:0xf// 000000007DBC: 06A4A4FA FF00AA96
	v_subrev_f32_dpp v83, v150, v83 quad_perm:[3,3,3,3] row_mask:0xf bank_mask:0xf// 000000007DC4: 06A6A6FA FF00FF96
	v_mfma_f32_16x16x16_f16 v[200:203], v[116:117], v[146:147], v[200:203]// 000000007DCC: D3CD00C8 07232574
	v_mul_f32_e32 v78, v54, v78                                // 000000007DD4: 0A9C9D36
	v_mul_f32_e32 v79, v55, v79                                // 000000007DD8: 0A9E9F37
	v_mul_f32_e32 v80, v56, v80                                // 000000007DDC: 0AA0A138
	v_mfma_f32_16x16x16_f16 v[204:207], v[118:119], v[146:147], v[204:207]// 000000007DE0: D3CD00CC 07332576
	v_mul_f32_e32 v81, v57, v81                                // 000000007DE8: 0AA2A339
	v_mul_f32_e32 v82, v58, v82                                // 000000007DEC: 0AA4A53A
	v_mul_f32_e32 v83, v59, v83                                // 000000007DF0: 0AA6A73B
	v_mfma_f32_16x16x16_f16 v[208:211], v[120:121], v[146:147], v[208:211]// 000000007DF4: D3CD00D0 07432578
	v_cvt_pkrtz_f16_f32 v75, v78, v79                          // 000000007DFC: D296004B 00029F4E
	v_cvt_pkrtz_f16_f32 v76, v80, v81                          // 000000007E04: D296004C 0002A350
	v_cvt_pkrtz_f16_f32 v77, v82, v83                          // 000000007E0C: D296004D 0002A752
	v_mfma_f32_16x16x16_f16 v[212:215], v[122:123], v[146:147], v[212:215]// 000000007E14: D3CD00D4 0753257A
	v_mov_b32_dpp v16, v75 quad_perm:[1,0,3,2] row_mask:0xf bank_mask:0xf// 000000007E1C: 7E2002FA FF00B14B
	v_perm_b32 v51, v16, v75, v15                              // 000000007E24: D1ED0033 043E9710
	v_mov_b32_dpp v16, v76 quad_perm:[1,0,3,2] row_mask:0xf bank_mask:0xf// 000000007E2C: 7E2002FA FF00B14C
	v_mfma_f32_16x16x16_f16 v[216:219], v[108:109], v[148:149], v[216:219]// 000000007E34: D3CD00D8 0763296C
	ds_write_b32 v18, v51 offset:20256                         // 000000007E3C: D81A4F20 00003312
	v_mfma_f32_16x16x16_f16 v[220:223], v[110:111], v[148:149], v[220:223]// 000000007E44: D3CD00DC 0773296E
	v_perm_b32 v52, v16, v76, v15                              // 000000007E4C: D1ED0034 043E9910
	v_mov_b32_dpp v16, v77 quad_perm:[1,0,3,2] row_mask:0xf bank_mask:0xf// 000000007E54: 7E2002FA FF00B14D
	v_perm_b32 v53, v16, v77, v15                              // 000000007E5C: D1ED0035 043E9B10
	v_mfma_f32_16x16x16_f16 v[224:227], v[112:113], v[148:149], v[224:227]// 000000007E64: D3CD00E0 07832970
	ds_write_b32 v18, v52 offset:22016                         // 000000007E6C: D81A5600 00003412
	ds_write_b32 v18, v53 offset:22560                         // 000000007E74: D81A5820 00003512
	v_mfma_f32_16x16x16_f16 v[228:231], v[114:115], v[148:149], v[228:231]// 000000007E7C: D3CD00E4 07932972
	v_mfma_f32_16x16x16_f16 v[232:235], v[116:117], v[148:149], v[232:235]// 000000007E84: D3CD00E8 07A32974
	ds_write_b32 v13, v84 offset:4352                          // 000000007E8C: D81A1100 0000540D
	ds_write_b32 v13, v85 offset:5408                          // 000000007E94: D81A1520 0000550D
	v_mfma_f32_16x16x16_f16 v[236:239], v[118:119], v[148:149], v[236:239]// 000000007E9C: D3CD00EC 07B32976
	v_mfma_f32_16x16x16_f16 v[240:243], v[120:121], v[148:149], v[240:243]// 000000007EA4: D3CD00F0 07C32978
	ds_write_b32 v13, v86 offset:4480                          // 000000007EAC: D81A1180 0000560D
	ds_write_b32 v13, v87 offset:5536                          // 000000007EB4: D81A15A0 0000570D
	v_mfma_f32_16x16x16_f16 v[244:247], v[122:123], v[148:149], v[244:247]// 000000007EBC: D3CD00F4 07D3297A
	s_nop 0                                                    // 000000007EC4: BF800000
	s_nop 0                                                    // 000000007EC8: BF800000
	s_nop 0                                                    // 000000007ECC: BF800000
	s_barrier                                                  // 000000007ED0: BF8A0000
	v_mfma_f32_16x16x16_f16 a[160:163], a[144:145], v[72:73], a[160:163]// 000000007ED4: D3CD80A0 0E829190
	ds_read_b32 v124, v21 offset:51200                         // 000000007EDC: D86CC800 7C000015
	ds_read_b32 v150, v21 offset:51456                         // 000000007EE4: D86CC900 96000015
	v_mfma_f32_16x16x16_f16 a[164:167], a[146:147], v[72:73], a[164:167]// 000000007EEC: D3CD80A4 0E929192
	buffer_atomic_add_f32 v136, v7, s[32:35], 0 offen          // 000000007EF4: E1341000 80088807
	v_mfma_f32_16x16x16_f16 a[168:171], a[148:149], v[72:73], a[168:171]// 000000007EFC: D3CD80A8 0EA29194
	s_waitcnt lgkmcnt(6)                                       // 000000007F04: BF8CC67F
	s_barrier                                                  // 000000007F08: BF8A0000
	v_mfma_f32_16x16x16_f16 a[172:175], a[150:151], v[72:73], a[172:175]// 000000007F0C: D3CD80AC 0EB29196
	v_mfma_f32_16x16x16_f16 a[176:179], a[152:153], v[72:73], a[176:179]// 000000007F14: D3CD80B0 0EC29198
	ds_read_b128 v[48:51], v17 offset:17408                    // 000000007F1C: D9FE4400 30000011
	v_mfma_f32_16x16x16_f16 a[180:183], a[154:155], v[72:73], a[180:183]// 000000007F24: D3CD80B4 0ED2919A
	v_mfma_f32_16x16x16_f16 a[184:187], a[156:157], v[72:73], a[184:187]// 000000007F2C: D3CD80B8 0EE2919C
	ds_read_b128 v[52:55], v17 offset:18560                    // 000000007F34: D9FE4880 34000011
	v_mfma_f32_16x16x16_f16 a[188:191], a[158:159], v[72:73], a[188:191]// 000000007F3C: D3CD80BC 0EF2919E
	buffer_atomic_add_f32 v137, v8, s[32:35], 0 offen          // 000000007F44: E1341000 80088908
	v_mfma_f32_16x16x16_f16 a[192:195], a[144:145], v[74:75], a[192:195]// 000000007F4C: D3CD80C0 0F029590
	ds_read_b128 v[56:59], v17 offset:19712                    // 000000007F54: D9FE4D00 38000011
	v_mfma_f32_16x16x16_f16 a[196:199], a[146:147], v[74:75], a[196:199]// 000000007F5C: D3CD80C4 0F129592
	v_mfma_f32_16x16x16_f16 a[200:203], a[148:149], v[74:75], a[200:203]// 000000007F64: D3CD80C8 0F229594
	ds_read_b128 v[60:63], v17 offset:20864                    // 000000007F6C: D9FE5180 3C000011
	v_mfma_f32_16x16x16_f16 a[204:207], a[150:151], v[74:75], a[204:207]// 000000007F74: D3CD80CC 0F329596
	v_mfma_f32_16x16x16_f16 a[208:211], a[152:153], v[74:75], a[208:211]// 000000007F7C: D3CD80D0 0F429598
	ds_read_b128 v[64:67], v17 offset:22016                    // 000000007F84: D9FE5600 40000011
	v_mfma_f32_16x16x16_f16 a[212:215], a[154:155], v[74:75], a[212:215]// 000000007F8C: D3CD80D4 0F52959A
	buffer_atomic_add_f32 v138, v7, s[32:35], 0 offen offset:128// 000000007F94: E1341080 80088A07
	v_mfma_f32_16x16x16_f16 a[216:219], a[156:157], v[74:75], a[216:219]// 000000007F9C: D3CD80D8 0F62959C
	ds_read_b128 v[68:71], v17 offset:23168                    // 000000007FA4: D9FE5A80 44000011
	v_mfma_f32_16x16x16_f16 a[220:223], a[158:159], v[74:75], a[220:223]// 000000007FAC: D3CD80DC 0F72959E
	v_mfma_f32_16x16x16_f16 a[224:227], a[144:145], v[76:77], a[224:227]// 000000007FB4: D3CD80E0 0F829990
	ds_write_b32 v13, v88 offset:13056                         // 000000007FBC: D81A3300 0000580D
	v_mfma_f32_16x16x16_f16 a[228:231], a[146:147], v[76:77], a[228:231]// 000000007FC4: D3CD80E4 0F929992
	v_mfma_f32_16x16x16_f16 a[232:235], a[148:149], v[76:77], a[232:235]// 000000007FCC: D3CD80E8 0FA29994
	ds_write_b32 v13, v89 offset:14112                         // 000000007FD4: D81A3720 0000590D
	v_mfma_f32_16x16x16_f16 a[236:239], a[150:151], v[76:77], a[236:239]// 000000007FDC: D3CD80EC 0FB29996
	buffer_atomic_add_f32 v139, v8, s[32:35], 0 offen offset:128// 000000007FE4: E1341080 80088B08
	v_mfma_f32_16x16x16_f16 a[240:243], a[152:153], v[76:77], a[240:243]// 000000007FEC: D3CD80F0 0FC29998
	ds_write_b32 v13, v90 offset:13184                         // 000000007FF4: D81A3380 00005A0D
	v_mfma_f32_16x16x16_f16 a[244:247], a[154:155], v[76:77], a[244:247]// 000000007FFC: D3CD80F4 0FD2999A
	v_mfma_f32_16x16x16_f16 a[248:251], a[156:157], v[76:77], a[248:251]// 000000008004: D3CD80F8 0FE2999C
	ds_write_b32 v13, v91 offset:14240                         // 00000000800C: D81A37A0 00005B0D
	v_mfma_f32_16x16x16_f16 a[252:255], a[158:159], v[76:77], a[252:255]// 000000008014: D3CD80FC 0FF2999E
	s_waitcnt vmcnt(8) lgkmcnt(4)                              // 00000000801C: BF8C0478
	s_barrier                                                  // 000000008020: BF8A0000
	v_mfma_f32_16x16x16_f16 v[128:131], v[48:49], a[48:49], 0  // 000000008024: D3CD0080 12026130
	ds_read_b128 a[144:147], v10                               // 00000000802C: DBFE0000 9000000A
	buffer_load_dword v36, v1, s[8:11], 0 idxen                // 000000008034: E0502000 80022401
	v_mfma_f32_16x16x16_f16 v[128:131], v[50:51], a[52:53], v[128:131]// 00000000803C: D3CD0080 16026932
	v_mul_f32_e32 v124, s48, v124                              // 000000008044: 0AF8F830
	s_nop 0                                                    // 000000008048: BF800000
	v_mfma_f32_16x16x16_f16 v[128:131], v[52:53], a[56:57], v[128:131]// 00000000804C: D3CD0080 16027134
	ds_read_b128 a[148:151], v10 offset:512                    // 000000008054: DBFE0200 9400000A
	buffer_load_dword v37, v2, s[8:11], 0 idxen                // 00000000805C: E0502000 80022502
	v_mfma_f32_16x16x16_f16 v[128:131], v[54:55], a[60:61], v[128:131]// 000000008064: D3CD0080 16027936
	v_mfma_f32_16x16x16_f16 v[128:131], v[56:57], a[64:65], v[128:131]// 00000000806C: D3CD0080 16028138
	ds_read_b128 a[152:155], v10 offset:2176                   // 000000008074: DBFE0880 9800000A
	buffer_load_dword v38, v3, s[8:11], 0 idxen                // 00000000807C: E0502000 80022603
	v_mfma_f32_16x16x16_f16 v[128:131], v[58:59], a[68:69], v[128:131]// 000000008084: D3CD0080 1602893A
	v_perm_b32 v84, v33, v32, s63                              // 00000000808C: D1ED0054 00FE4121
	v_perm_b32 v85, v33, v32, s64                              // 000000008094: D1ED0055 01024121
	v_mfma_f32_16x16x16_f16 v[128:131], v[60:61], a[72:73], v[128:131]// 00000000809C: D3CD0080 1602913C
	ds_read_b128 a[156:159], v10 offset:2688                   // 0000000080A4: DBFE0A80 9C00000A
	buffer_load_dword v39, v4, s[8:11], 0 idxen                // 0000000080AC: E0502000 80022704
	v_mfma_f32_16x16x16_f16 v[128:131], v[62:63], a[76:77], v[128:131]// 0000000080B4: D3CD0080 1602993E
	v_perm_b32 v86, v35, v34, s63                              // 0000000080BC: D1ED0056 00FE4523
	v_perm_b32 v87, v35, v34, s64                              // 0000000080C4: D1ED0057 01024523
	v_mfma_f32_16x16x16_f16 v[128:131], v[64:65], a[80:81], v[128:131]// 0000000080CC: D3CD0080 1602A140
	ds_read_b128 v[92:95], v10 offset:8704                     // 0000000080D4: D9FE2200 5C00000A
	buffer_load_dword v44, v248, s[20:23], 0 idxen             // 0000000080DC: E0502000 80052CF8
	v_mfma_f32_16x16x16_f16 v[128:131], v[66:67], a[84:85], v[128:131]// 0000000080E4: D3CD0080 1602A942
	v_perm_b32 v88, v41, v40, s63                              // 0000000080EC: D1ED0058 00FE5129
	v_perm_b32 v89, v41, v40, s64                              // 0000000080F4: D1ED0059 01025129
	v_mfma_f32_16x16x16_f16 v[128:131], v[68:69], a[88:89], v[128:131]// 0000000080FC: D3CD0080 1602B144
	ds_read_b128 v[96:99], v10 offset:9216                     // 000000008104: D9FE2400 6000000A
	buffer_load_dword v45, v249, s[20:23], 0 idxen             // 00000000810C: E0502000 80052DF9
	v_mfma_f32_16x16x16_f16 v[128:131], v[70:71], a[92:93], v[128:131]// 000000008114: D3CD0080 1602B946
	v_perm_b32 v90, v43, v42, s63                              // 00000000811C: D1ED005A 00FE552B
	v_perm_b32 v91, v43, v42, s64                              // 000000008124: D1ED005B 0102552B
	v_mfma_f32_16x16x16_f16 v[132:135], v[48:49], a[50:51], 0  // 00000000812C: D3CD0084 12026530
	ds_read_b128 v[100:103], v10 offset:10880                  // 000000008134: D9FE2A80 6400000A
	buffer_load_dword v46, v250, s[20:23], 0 idxen             // 00000000813C: E0502000 80052EFA
	v_mfma_f32_16x16x16_f16 v[132:135], v[50:51], a[54:55], v[132:135]// 000000008144: D3CD0084 16126D32
	v_mov_b32_dpp v127, v124 quad_perm:[3,3,3,3] row_mask:0xf bank_mask:0xf// 00000000814C: 7EFE02FA FF00FF7C
	v_mov_b32_dpp v126, v124 quad_perm:[2,2,2,2] row_mask:0xf bank_mask:0xf// 000000008154: 7EFC02FA FF00AA7C
	v_mfma_f32_16x16x16_f16 v[132:135], v[52:53], a[58:59], v[132:135]// 00000000815C: D3CD0084 16127534
	ds_read_b128 v[104:107], v10 offset:11392                  // 000000008164: D9FE2C80 6800000A
	buffer_load_dword v47, v251, s[20:23], 0 idxen             // 00000000816C: E0502000 80052FFB
	v_mfma_f32_16x16x16_f16 v[132:135], v[54:55], a[62:63], v[132:135]// 000000008174: D3CD0084 16127D36
	v_mov_b32_dpp v125, v124 quad_perm:[1,1,1,1] row_mask:0xf bank_mask:0xf// 00000000817C: 7EFA02FA FF00557C
	v_mov_b32_dpp v124, v124 quad_perm:[0,0,0,0] row_mask:0xf bank_mask:0xf// 000000008184: 7EF802FA FF00007C
	s_add_u32 s60, 64, s59                                     // 00000000818C: 803C3BC0
	v_mfma_f32_16x16x16_f16 v[132:135], v[56:57], a[66:67], v[132:135]// 000000008190: D3CD0084 16128538
	buffer_load_dword v9, s[24:27], 0 idxen lds                // 000000008198: E0512000 80060009
	v_mfma_f32_16x16x16_f16 v[132:135], v[58:59], a[70:71], v[132:135]// 0000000081A0: D3CD0084 16128D3A
	s_cmp_lt_u32 s60, s58                                      // 0000000081A8: BF0A3A3C
	s_cselect_b32 s68, s68, 0                                  // 0000000081AC: 85448044
	s_cselect_b32 s100, s100, 0                                // 0000000081B0: 85648064
	s_cselect_b32 s69, s69, 0                                  // 0000000081B4: 85458045
	v_mfma_f32_16x16x16_f16 v[132:135], v[60:61], a[74:75], v[132:135]// 0000000081B8: D3CD0084 1612953C
	v_add_u32_e32 v1, s68, v1                                  // 0000000081C0: 68020244
	v_add_u32_e32 v2, s68, v2                                  // 0000000081C4: 68040444
	v_add_u32_e32 v3, s68, v3                                  // 0000000081C8: 68060644
	v_add_u32_e32 v4, s68, v4                                  // 0000000081CC: 68080844
	v_mfma_f32_16x16x16_f16 v[132:135], v[62:63], a[78:79], v[132:135]// 0000000081D0: D3CD0084 16129D3E
	v_add_u32_e32 v248, s100, v248                             // 0000000081D8: 69F1F064
	v_add_u32_e32 v249, s100, v249                             // 0000000081DC: 69F3F264
	v_add_u32_e32 v250, s100, v250                             // 0000000081E0: 69F5F464
	v_add_u32_e32 v251, s100, v251                             // 0000000081E4: 69F7F664
	v_mfma_f32_16x16x16_f16 v[132:135], v[64:65], a[82:83], v[132:135]// 0000000081E8: D3CD0084 1612A540
	s_mov_b32 m0, s78                                          // 0000000081F0: BEFC004E
	v_add_u32_e32 v9, s69, v9                                  // 0000000081F4: 68121245
	v_mfma_f32_16x16x16_f16 v[132:135], v[66:67], a[86:87], v[132:135]// 0000000081F8: D3CD0084 1612AD42
	s_cmp_ge_u32 s59, s73                                      // 000000008200: BF09493B
	s_cselect_b32 s66, s67, s66                                // 000000008204: 85424243
	v_mfma_f32_16x16x16_f16 v[132:135], v[68:69], a[90:91], v[132:135]// 000000008208: D3CD0084 1612B544
	s_addk_i32 s59, 0x10                                       // 000000008210: B73B0010
	s_nop 0                                                    // 000000008214: BF800000
	s_cmp_lt_i32 s59, s58                                      // 000000008218: BF043A3B
	v_mfma_f32_16x16x16_f16 v[132:135], v[70:71], a[94:95], v[132:135]// 00000000821C: D3CD0084 1612BD46
	s_cbranch_scc0 label_0E3E                                  // 000000008224: BF84FD2A
	s_waitcnt lgkmcnt(0)                                       // 000000008228: BF8CC07F
	s_barrier                                                  // 00000000822C: BF8A0000
	v_mfma_f32_16x16x16_f16 v[48:51], a[144:145], a[0:1], 0    // 000000008230: D3CD0030 1A020190
	v_mul_f32_e32 v128, s47, v128                              // 000000008238: 0B01002F
	v_mul_f32_e32 v129, s47, v129                              // 00000000823C: 0B03022F
	v_mfma_f32_16x16x16_f16 v[48:51], a[146:147], a[2:3], v[48:51]// 000000008240: D3CD0030 1CC20592
	ds_write_b32 v11, v40 offset:8704                          // 000000008248: D81A2200 0000280B
	ds_write_b32 v11, v41 offset:9760                          // 000000008250: D81A2620 0000290B
	v_mfma_f32_16x16x16_f16 v[48:51], a[148:149], a[4:5], v[48:51]// 000000008258: D3CD0030 1CC20994
	v_mul_f32_e32 v130, s47, v130                              // 000000008260: 0B05042F
	v_mul_f32_e32 v131, s47, v131                              // 000000008264: 0B07062F
	v_mfma_f32_16x16x16_f16 v[48:51], a[150:151], a[6:7], v[48:51]// 000000008268: D3CD0030 1CC20D96
	ds_write_b32 v11, v42 offset:8832                          // 000000008270: D81A2280 00002A0B
	ds_write_b32 v11, v43 offset:9888                          // 000000008278: D81A26A0 00002B0B
	v_mfma_f32_16x16x16_f16 v[48:51], a[152:153], a[8:9], v[48:51]// 000000008280: D3CD0030 1CC21198
	v_mul_f32_e32 v132, s47, v132                              // 000000008288: 0B09082F
	v_mul_f32_e32 v133, s47, v133                              // 00000000828C: 0B0B0A2F
	v_mfma_f32_16x16x16_f16 v[48:51], a[154:155], a[10:11], v[48:51]// 000000008290: D3CD0030 1CC2159A
	ds_write_b64 v20, v[128:129] offset:24320                  // 000000008298: D89A5F00 00008014
	v_mfma_f32_16x16x16_f16 v[48:51], a[156:157], a[12:13], v[48:51]// 0000000082A0: D3CD0030 1CC2199C
	v_mul_f32_e32 v134, s47, v134                              // 0000000082A8: 0B0D0C2F
	v_mul_f32_e32 v135, s47, v135                              // 0000000082AC: 0B0F0E2F
	v_mfma_f32_16x16x16_f16 v[48:51], a[158:159], a[14:15], v[48:51]// 0000000082B0: D3CD0030 1CC21D9E
	ds_write_b64 v20, v[130:131] offset:24832                  // 0000000082B8: D89A6100 00008214
	v_mfma_f32_16x16x16_f16 v[52:55], a[144:145], a[16:17], 0  // 0000000082C0: D3CD0034 1A022190
	buffer_atomic_add_f32 v140, v7, s[32:35], 0 offen offset:256// 0000000082C8: E1341100 80088C07
	v_mfma_f32_16x16x16_f16 v[52:55], a[146:147], a[18:19], v[52:55]// 0000000082D0: D3CD0034 1CD22592
	ds_write_b64 v20, v[132:133] offset:25344                  // 0000000082D8: D89A6300 00008414
	v_mfma_f32_16x16x16_f16 v[52:55], a[148:149], a[20:21], v[52:55]// 0000000082E0: D3CD0034 1CD22994
	v_mfma_f32_16x16x16_f16 v[52:55], a[150:151], a[22:23], v[52:55]// 0000000082E8: D3CD0034 1CD22D96
	ds_write_b64 v20, v[134:135] offset:25856                  // 0000000082F0: D89A6500 00008614
	v_mfma_f32_16x16x16_f16 v[52:55], a[152:153], a[24:25], v[52:55]// 0000000082F8: D3CD0034 1CD23198
	buffer_atomic_add_f32 v141, v8, s[32:35], 0 offen offset:256// 000000008300: E1341100 80088D08
	v_mfma_f32_16x16x16_f16 v[52:55], a[154:155], a[26:27], v[52:55]// 000000008308: D3CD0034 1CD2359A
	ds_read_b128 v[108:111], v12 offset:13056                  // 000000008310: D9FE3300 6C00000C
	ds_write_b32 v11, v32                                      // 000000008318: D81A0000 0000200B
	v_mfma_f32_16x16x16_f16 v[52:55], a[156:157], a[28:29], v[52:55]// 000000008320: D3CD0034 1CD2399C
	v_mfma_f32_16x16x16_f16 v[52:55], a[158:159], a[30:31], v[52:55]// 000000008328: D3CD0034 1CD23D9E
	v_mfma_f32_16x16x16_f16 v[56:59], a[144:145], a[32:33], 0  // 000000008330: D3CD0038 1A024190
	ds_read_b128 v[112:115], v12 offset:13568                  // 000000008338: D9FE3500 7000000C
	ds_write_b32 v11, v33 offset:1056                          // 000000008340: D81A0420 0000210B
	v_mfma_f32_16x16x16_f16 v[56:59], a[146:147], a[34:35], v[56:59]// 000000008348: D3CD0038 1CE24592
	buffer_atomic_add_f32 v142, v7, s[32:35], 0 offen offset:384// 000000008350: E1341180 80088E07
	v_mfma_f32_16x16x16_f16 v[56:59], a[148:149], a[36:37], v[56:59]// 000000008358: D3CD0038 1CE24994
	v_mfma_f32_16x16x16_f16 v[56:59], a[150:151], a[38:39], v[56:59]// 000000008360: D3CD0038 1CE24D96
	ds_read_b128 v[116:119], v12 offset:15232                  // 000000008368: D9FE3B80 7400000C
	ds_write_b32 v11, v34 offset:128                           // 000000008370: D81A0080 0000220B
	v_mfma_f32_16x16x16_f16 v[56:59], a[152:153], a[40:41], v[56:59]// 000000008378: D3CD0038 1CE25198
	v_mfma_f32_16x16x16_f16 v[56:59], a[154:155], a[42:43], v[56:59]// 000000008380: D3CD0038 1CE2559A
	buffer_atomic_add_f32 v143, v8, s[32:35], 0 offen offset:384// 000000008388: E1341180 80088F08
	v_mfma_f32_16x16x16_f16 v[56:59], a[156:157], a[44:45], v[56:59]// 000000008390: D3CD0038 1CE2599C
	ds_read_b128 v[120:123], v12 offset:15744                  // 000000008398: D9FE3D80 7800000C
	ds_write_b32 v11, v35 offset:1184                          // 0000000083A0: D81A04A0 0000230B
	v_mfma_f32_16x16x16_f16 v[56:59], a[158:159], a[46:47], v[56:59]// 0000000083A8: D3CD0038 1CE25D9E
	s_cmp_eq_i32 s82, 0                                        // 0000000083B0: BF008052
	s_cbranch_scc1 label_1211                                  // 0000000083B4: BF85008F
	s_cmp_lt_i32 s74, 12                                       // 0000000083B8: BF048C4A
	s_cbranch_scc0 label_11BC                                  // 0000000083BC: BF84003D
	s_lshl_b32 s60, s74, 4                                     // 0000000083C0: 8E3C844A
	v_sub_i32 v28, v252, s60                                   // 0000000083C4: D29D001C 000079FC
	s_mov_b32 s61, 0                                           // 0000000083CC: BEBD0080
	v_add_i32 v29, v28, s61                                    // 0000000083D0: D29C001D 00007B1C
	v_cmp_gt_i32_e64 s[88:89], v29, 0                          // 0000000083D8: D0C40058 0001011D
	v_cmp_gt_i32_e64 s[92:93], v29, 1                          // 0000000083E0: D0C4005C 0001031D
	v_cndmask_b32_e64 v48, v48, v151, s[88:89]                 // 0000000083E8: D1000030 01632F30
	v_cndmask_b32_e64 v49, v49, v151, s[92:93]                 // 0000000083F0: D1000031 01732F31
	v_cmp_gt_i32_e64 s[88:89], v29, 2                          // 0000000083F8: D0C40058 0001051D
	v_cmp_gt_i32_e64 s[92:93], v29, 3                          // 000000008400: D0C4005C 0001071D
	v_cndmask_b32_e64 v50, v50, v151, s[88:89]                 // 000000008408: D1000032 01632F32
	v_cndmask_b32_e64 v51, v51, v151, s[92:93]                 // 000000008410: D1000033 01732F33
	s_mov_b32 s61, 64                                          // 000000008418: BEBD00C0
	v_add_i32 v29, v28, s61                                    // 00000000841C: D29C001D 00007B1C
	v_cmp_gt_i32_e64 s[88:89], v29, 0                          // 000000008424: D0C40058 0001011D
	v_cmp_gt_i32_e64 s[92:93], v29, 1                          // 00000000842C: D0C4005C 0001031D
	v_cndmask_b32_e64 v52, v52, v151, s[88:89]                 // 000000008434: D1000034 01632F34
	v_cndmask_b32_e64 v53, v53, v151, s[92:93]                 // 00000000843C: D1000035 01732F35
	v_cmp_gt_i32_e64 s[88:89], v29, 2                          // 000000008444: D0C40058 0001051D
	v_cmp_gt_i32_e64 s[92:93], v29, 3                          // 00000000844C: D0C4005C 0001071D
	v_cndmask_b32_e64 v54, v54, v151, s[88:89]                 // 000000008454: D1000036 01632F36
	v_cndmask_b32_e64 v55, v55, v151, s[92:93]                 // 00000000845C: D1000037 01732F37
	s_mov_b32 s61, 0x80                                        // 000000008464: BEBD00FF 00000080
	v_add_i32 v29, v28, s61                                    // 00000000846C: D29C001D 00007B1C
	v_cmp_gt_i32_e64 s[88:89], v29, 0                          // 000000008474: D0C40058 0001011D
	v_cmp_gt_i32_e64 s[92:93], v29, 1                          // 00000000847C: D0C4005C 0001031D
	v_cndmask_b32_e64 v56, v56, v151, s[88:89]                 // 000000008484: D1000038 01632F38
	v_cndmask_b32_e64 v57, v57, v151, s[92:93]                 // 00000000848C: D1000039 01732F39
	v_cmp_gt_i32_e64 s[88:89], v29, 2                          // 000000008494: D0C40058 0001051D
	v_cmp_gt_i32_e64 s[92:93], v29, 3                          // 00000000849C: D0C4005C 0001071D
	v_cndmask_b32_e64 v58, v58, v151, s[88:89]                 // 0000000084A4: D100003A 01632F3A
	v_cndmask_b32_e64 v59, v59, v151, s[92:93]                 // 0000000084AC: D100003B 01732F3B

00000000000084b4 <label_11BC>:
	s_cmp_lt_i32 s84, 0xc0                                     // 0000000084B4: BF04FF54 000000C0
	s_cbranch_scc0 label_1211                                  // 0000000084BC: BF84004D
	s_cmp_le_i32 s84, 64                                       // 0000000084C0: BF05C054
	s_cbranch_scc1 label_11C8                                  // 0000000084C4: BF850007
	s_cmp_le_i32 s84, 0x80                                     // 0000000084C8: BF05FF54 00000080
	s_cbranch_scc1 label_11E0                                  // 0000000084D0: BF850017
	s_cmp_lt_i32 s84, 0xc0                                     // 0000000084D4: BF04FF54 000000C0
	s_cbranch_scc1 label_11F8                                  // 0000000084DC: BF85002C
	s_branch label_1211                                        // 0000000084E0: BF820044

00000000000084e4 <label_11C8>:
	s_mov_b32 s60, 0                                           // 0000000084E4: BEBC0080
	v_and_b32_e32 v28, 15, v0                                  // 0000000084E8: 2638008F
	v_add_u32_e64 v28, v28, s60                                // 0000000084EC: D134001C 0000791C
	v_mul_i32_i24_e64 v29, s46, 16                             // 0000000084F4: D106001D 0001202E
	v_add_u32_e32 v28, v28, v29                                // 0000000084FC: 68383B1C
	v_cmp_lt_u32_e64 s[60:61], v28, s84                        // 000000008500: D0C9003C 0000A91C
	s_nop 1                                                    // 000000008508: BF800001
	v_cndmask_b32_e64 v48, v151, v48, s[60:61]                 // 00000000850C: D1000030 00F26197
	v_cndmask_b32_e64 v49, v151, v49, s[60:61]                 // 000000008514: D1000031 00F26397
	v_cndmask_b32_e64 v50, v151, v50, s[60:61]                 // 00000000851C: D1000032 00F26597
	v_cndmask_b32_e64 v51, v151, v51, s[60:61]                 // 000000008524: D1000033 00F26797
	s_branch label_11F3                                        // 00000000852C: BF820013

0000000000008530 <label_11E0>:
	s_mov_b32 s60, 64                                          // 000000008530: BEBC00C0
	v_and_b32_e32 v28, 15, v0                                  // 000000008534: 2638008F
	v_add_u32_e64 v28, v28, s60                                // 000000008538: D134001C 0000791C
	v_mul_i32_i24_e64 v29, s46, 16                             // 000000008540: D106001D 0001202E
	v_add_u32_e32 v28, v28, v29                                // 000000008548: 68383B1C
	v_cmp_lt_u32_e64 s[60:61], v28, s84                        // 00000000854C: D0C9003C 0000A91C
	s_nop 1                                                    // 000000008554: BF800001
	v_cndmask_b32_e64 v52, v151, v52, s[60:61]                 // 000000008558: D1000034 00F26997
	v_cndmask_b32_e64 v53, v151, v53, s[60:61]                 // 000000008560: D1000035 00F26B97
	v_cndmask_b32_e64 v54, v151, v54, s[60:61]                 // 000000008568: D1000036 00F26D97
	v_cndmask_b32_e64 v55, v151, v55, s[60:61]                 // 000000008570: D1000037 00F26F97
	s_branch label_120C                                        // 000000008578: BF820019

000000000000857c <label_11F3>:
	v_mov_b32_e32 v52, v151                                    // 00000000857C: 7E680397
	v_mov_b32_e32 v53, v151                                    // 000000008580: 7E6A0397
	v_mov_b32_e32 v54, v151                                    // 000000008584: 7E6C0397
	v_mov_b32_e32 v55, v151                                    // 000000008588: 7E6E0397
	s_branch label_120C                                        // 00000000858C: BF820014

0000000000008590 <label_11F8>:
	s_mov_b32 s60, 0x80                                        // 000000008590: BEBC00FF 00000080
	v_and_b32_e32 v28, 15, v0                                  // 000000008598: 2638008F
	v_add_u32_e64 v28, v28, s60                                // 00000000859C: D134001C 0000791C
	v_mul_i32_i24_e64 v29, s46, 16                             // 0000000085A4: D106001D 0001202E
	v_add_u32_e32 v28, v28, v29                                // 0000000085AC: 68383B1C
	v_cmp_lt_u32_e64 s[60:61], v28, s84                        // 0000000085B0: D0C9003C 0000A91C
	s_nop 1                                                    // 0000000085B8: BF800001
	v_cndmask_b32_e64 v56, v151, v56, s[60:61]                 // 0000000085BC: D1000038 00F27197
	v_cndmask_b32_e64 v57, v151, v57, s[60:61]                 // 0000000085C4: D1000039 00F27397
	v_cndmask_b32_e64 v58, v151, v58, s[60:61]                 // 0000000085CC: D100003A 00F27597
	v_cndmask_b32_e64 v59, v151, v59, s[60:61]                 // 0000000085D4: D100003B 00F27797
	s_branch label_1211                                        // 0000000085DC: BF820005

00000000000085e0 <label_120C>:
	v_mov_b32_e32 v56, v151                                    // 0000000085E0: 7E700397
	v_mov_b32_e32 v57, v151                                    // 0000000085E4: 7E720397
	v_mov_b32_e32 v58, v151                                    // 0000000085E8: 7E740397
	v_mov_b32_e32 v59, v151                                    // 0000000085EC: 7E760397
	s_branch label_1211                                        // 0000000085F0: BF820000

00000000000085f4 <label_1211>:
	s_addk_i32 s74, 0x1                                        // 0000000085F4: B74A0001
	s_waitcnt lgkmcnt(8)                                       // 0000000085F8: BF8CC87F
	s_barrier                                                  // 0000000085FC: BF8A0000
	v_mfma_f32_16x16x16_f16 v[72:75], v[92:93], a[96:97], 0    // 000000008600: D3CD0048 1202C15C
	v_fma_f32 v48, v48, s57, -v124                             // 000000008608: D1CB0030 85F07330
	v_fma_f32 v49, v49, s57, -v125                             // 000000008610: D1CB0031 85F47331
	v_fma_f32 v50, v50, s57, -v126                             // 000000008618: D1CB0032 85F87332
	v_mfma_f32_16x16x16_f16 v[72:75], v[94:95], a[98:99], v[72:75]// 000000008620: D3CD0048 1522C55E
	ds_read_b128 a[144:147], v12 offset:4352                   // 000000008628: DBFE1100 9000000C
	ds_read_b128 a[148:151], v12 offset:4864                   // 000000008630: DBFE1300 9400000C
	v_mfma_f32_16x16x16_f16 v[72:75], v[96:97], a[100:101], v[72:75]// 000000008638: D3CD0048 1522C960
	v_fma_f32 v51, v51, s57, -v127                             // 000000008640: D1CB0033 85FC7333
	v_fma_f32 v52, v52, s57, -v124                             // 000000008648: D1CB0034 85F07334
	v_fma_f32 v53, v53, s57, -v125                             // 000000008650: D1CB0035 85F47335
	v_mfma_f32_16x16x16_f16 v[72:75], v[98:99], a[102:103], v[72:75]// 000000008658: D3CD0048 1522CD62
	v_fma_f32 v54, v54, s57, -v126                             // 000000008660: D1CB0036 85F87336
	v_fma_f32 v55, v55, s57, -v127                             // 000000008668: D1CB0037 85FC7337
	v_fma_f32 v56, v56, s57, -v124                             // 000000008670: D1CB0038 85F07338
	v_mfma_f32_16x16x16_f16 v[72:75], v[100:101], a[104:105], v[72:75]// 000000008678: D3CD0048 1522D164
	v_fma_f32 v57, v57, s57, -v125                             // 000000008680: D1CB0039 85F47339
	v_fma_f32 v58, v58, s57, -v126                             // 000000008688: D1CB003A 85F8733A
	v_fma_f32 v59, v59, s57, -v127                             // 000000008690: D1CB003B 85FC733B
	v_mfma_f32_16x16x16_f16 v[72:75], v[102:103], a[106:107], v[72:75]// 000000008698: D3CD0048 1522D566
	ds_read_b128 a[152:155], v12 offset:6528                   // 0000000086A0: DBFE1980 9800000C
	ds_read_b128 a[156:159], v12 offset:7040                   // 0000000086A8: DBFE1B80 9C00000C
	v_mfma_f32_16x16x16_f16 v[72:75], v[104:105], a[108:109], v[72:75]// 0000000086B0: D3CD0048 1522D968
	v_exp_f32_e32 v48, v48                                     // 0000000086B8: 7E604130
	v_mfma_f32_16x16x16_f16 v[72:75], v[106:107], a[110:111], v[72:75]// 0000000086BC: D3CD0048 1522DD6A
	v_exp_f32_e32 v49, v49                                     // 0000000086C4: 7E624131
	v_mfma_f32_16x16x16_f16 v[76:79], v[92:93], a[112:113], 0  // 0000000086C8: D3CD004C 1202E15C
	v_exp_f32_e32 v50, v50                                     // 0000000086D0: 7E644132
	v_mfma_f32_16x16x16_f16 v[76:79], v[94:95], a[114:115], v[76:79]// 0000000086D4: D3CD004C 1532E55E
	ds_read_b64 v[136:137], v19 offset:24320                   // 0000000086DC: D8EC5F00 88000013
	ds_read_b64 v[138:139], v19 offset:26368                   // 0000000086E4: D8EC6700 8A000013
	v_mfma_f32_16x16x16_f16 v[76:79], v[96:97], a[116:117], v[76:79]// 0000000086EC: D3CD004C 1532E960
	v_exp_f32_e32 v51, v51                                     // 0000000086F4: 7E664133
	v_mfma_f32_16x16x16_f16 v[76:79], v[98:99], a[118:119], v[76:79]// 0000000086F8: D3CD004C 1532ED62
	ds_read_b64 v[140:141], v19 offset:28416                   // 000000008700: D8EC6F00 8C000013
	ds_read_b64 v[142:143], v19 offset:30464                   // 000000008708: D8EC7700 8E000013
	v_mfma_f32_16x16x16_f16 v[76:79], v[100:101], a[120:121], v[76:79]// 000000008710: D3CD004C 1532F164
	v_exp_f32_e32 v52, v52                                     // 000000008718: 7E684134
	v_mfma_f32_16x16x16_f16 v[76:79], v[102:103], a[122:123], v[76:79]// 00000000871C: D3CD004C 1532F566
	v_exp_f32_e32 v53, v53                                     // 000000008724: 7E6A4135
	v_mfma_f32_16x16x16_f16 v[76:79], v[104:105], a[124:125], v[76:79]// 000000008728: D3CD004C 1532F968
	v_exp_f32_e32 v54, v54                                     // 000000008730: 7E6C4136
	v_mfma_f32_16x16x16_f16 v[76:79], v[106:107], a[126:127], v[76:79]// 000000008734: D3CD004C 1532FD6A
	v_exp_f32_e32 v55, v55                                     // 00000000873C: 7E6E4137
	v_mfma_f32_16x16x16_f16 v[80:83], v[92:93], a[128:129], 0  // 000000008740: D3CD0050 1203015C
	v_exp_f32_e32 v56, v56                                     // 000000008748: 7E704138
	v_mfma_f32_16x16x16_f16 v[80:83], v[94:95], a[130:131], v[80:83]// 00000000874C: D3CD0050 1543055E
	v_exp_f32_e32 v57, v57                                     // 000000008754: 7E724139
	v_mfma_f32_16x16x16_f16 v[80:83], v[96:97], a[132:133], v[80:83]// 000000008758: D3CD0050 15430960
	v_exp_f32_e32 v58, v58                                     // 000000008760: 7E74413A
	v_mfma_f32_16x16x16_f16 v[80:83], v[98:99], a[134:135], v[80:83]// 000000008764: D3CD0050 15430D62
	v_exp_f32_e32 v59, v59                                     // 00000000876C: 7E76413B
	v_mfma_f32_16x16x16_f16 v[80:83], v[100:101], a[136:137], v[80:83]// 000000008770: D3CD0050 15431164
	v_cvt_pkrtz_f16_f32 v144, v48, v49                         // 000000008778: D2960090 00026330
	v_cvt_pkrtz_f16_f32 v145, v50, v51                         // 000000008780: D2960091 00026732
	v_cvt_pkrtz_f16_f32 v146, v52, v53                         // 000000008788: D2960092 00026B34
	v_mfma_f32_16x16x16_f16 v[80:83], v[102:103], a[138:139], v[80:83]// 000000008790: D3CD0050 15431566
	v_cvt_pkrtz_f16_f32 v147, v54, v55                         // 000000008798: D2960093 00026F36
	v_cvt_pkrtz_f16_f32 v148, v56, v57                         // 0000000087A0: D2960094 00027338
	v_cvt_pkrtz_f16_f32 v149, v58, v59                         // 0000000087A8: D2960095 0002773A
	v_mfma_f32_16x16x16_f16 v[80:83], v[104:105], a[140:141], v[80:83]// 0000000087B0: D3CD0050 15431968
	v_add_u32_e32 v7, s66, v7                                  // 0000000087B8: 680E0E42
	v_add_u32_e32 v8, s66, v8                                  // 0000000087BC: 68101042
	v_mfma_f32_16x16x16_f16 v[80:83], v[106:107], a[142:143], v[80:83]// 0000000087C0: D3CD0050 15431D6A
	s_waitcnt lgkmcnt(0)                                       // 0000000087C8: BF8CC07F
	s_barrier                                                  // 0000000087CC: BF8A0000
	v_mfma_f32_16x16x16_f16 v[152:155], v[108:109], v[144:145], v[152:155]// 0000000087D0: D3CD0098 0663216C
	v_subrev_f32_dpp v72, v150, v72 quad_perm:[0,0,0,0] row_mask:0xf bank_mask:0xf// 0000000087D8: 069090FA FF000096
	v_subrev_f32_dpp v73, v150, v73 quad_perm:[1,1,1,1] row_mask:0xf bank_mask:0xf// 0000000087E0: 069292FA FF005596
	v_subrev_f32_dpp v74, v150, v74 quad_perm:[2,2,2,2] row_mask:0xf bank_mask:0xf// 0000000087E8: 069494FA FF00AA96
	v_mfma_f32_16x16x16_f16 v[156:159], v[110:111], v[144:145], v[156:159]// 0000000087F0: D3CD009C 0673216E
	v_subrev_f32_dpp v75, v150, v75 quad_perm:[3,3,3,3] row_mask:0xf bank_mask:0xf// 0000000087F8: 069696FA FF00FF96
	v_subrev_f32_dpp v76, v150, v76 quad_perm:[0,0,0,0] row_mask:0xf bank_mask:0xf// 000000008800: 069898FA FF000096
	v_subrev_f32_dpp v77, v150, v77 quad_perm:[1,1,1,1] row_mask:0xf bank_mask:0xf// 000000008808: 069A9AFA FF005596
	v_mfma_f32_16x16x16_f16 v[160:163], v[112:113], v[144:145], v[160:163]// 000000008810: D3CD00A0 06832170
	v_mul_f32_e32 v72, v48, v72                                // 000000008818: 0A909130
	v_mul_f32_e32 v73, v49, v73                                // 00000000881C: 0A929331
	v_mul_f32_e32 v74, v50, v74                                // 000000008820: 0A949532
	v_mfma_f32_16x16x16_f16 v[164:167], v[114:115], v[144:145], v[164:167]// 000000008824: D3CD00A4 06932172
	v_mul_f32_e32 v75, v51, v75                                // 00000000882C: 0A969733
	v_mul_f32_e32 v76, v52, v76                                // 000000008830: 0A989934
	v_mul_f32_e32 v77, v53, v77                                // 000000008834: 0A9A9B35
	v_mfma_f32_16x16x16_f16 v[168:171], v[116:117], v[144:145], v[168:171]// 000000008838: D3CD00A8 06A32174
	v_cvt_pkrtz_f16_f32 v72, v72, v73                          // 000000008840: D2960048 00029348
	v_cvt_pkrtz_f16_f32 v73, v74, v75                          // 000000008848: D2960049 0002974A
	v_cvt_pkrtz_f16_f32 v74, v76, v77                          // 000000008850: D296004A 00029B4C
	v_mfma_f32_16x16x16_f16 v[172:175], v[118:119], v[144:145], v[172:175]// 000000008858: D3CD00AC 06B32176
	v_mov_b32_dpp v16, v72 quad_perm:[1,0,3,2] row_mask:0xf bank_mask:0xf// 000000008860: 7E2002FA FF00B148
	v_perm_b32 v48, v16, v72, v15                              // 000000008868: D1ED0030 043E9110
	v_mov_b32_dpp v16, v73 quad_perm:[1,0,3,2] row_mask:0xf bank_mask:0xf// 000000008870: 7E2002FA FF00B149
	v_mfma_f32_16x16x16_f16 v[176:179], v[120:121], v[144:145], v[176:179]// 000000008878: D3CD00B0 06C32178
	ds_write_b32 v18, v48 offset:17408                         // 000000008880: D81A4400 00003012
	v_mfma_f32_16x16x16_f16 v[180:183], v[122:123], v[144:145], v[180:183]// 000000008888: D3CD00B4 06D3217A
	v_perm_b32 v49, v16, v73, v15                              // 000000008890: D1ED0031 043E9310
	v_mov_b32_dpp v16, v74 quad_perm:[1,0,3,2] row_mask:0xf bank_mask:0xf// 000000008898: 7E2002FA FF00B14A
	v_perm_b32 v50, v16, v74, v15                              // 0000000088A0: D1ED0032 043E9510
	v_mfma_f32_16x16x16_f16 v[184:187], v[108:109], v[146:147], v[184:187]// 0000000088A8: D3CD00B8 06E3256C
	ds_write_b32 v18, v49 offset:17952                         // 0000000088B0: D81A4620 00003112
	v_mfma_f32_16x16x16_f16 v[188:191], v[110:111], v[146:147], v[188:191]// 0000000088B8: D3CD00BC 06F3256E
	v_subrev_f32_dpp v78, v150, v78 quad_perm:[2,2,2,2] row_mask:0xf bank_mask:0xf// 0000000088C0: 069C9CFA FF00AA96
	v_subrev_f32_dpp v79, v150, v79 quad_perm:[3,3,3,3] row_mask:0xf bank_mask:0xf// 0000000088C8: 069E9EFA FF00FF96
	v_subrev_f32_dpp v80, v150, v80 quad_perm:[0,0,0,0] row_mask:0xf bank_mask:0xf// 0000000088D0: 06A0A0FA FF000096
	v_mfma_f32_16x16x16_f16 v[192:195], v[112:113], v[146:147], v[192:195]// 0000000088D8: D3CD00C0 07032570
	ds_write_b32 v18, v50 offset:19712                         // 0000000088E0: D81A4D00 00003212
	v_mfma_f32_16x16x16_f16 v[196:199], v[114:115], v[146:147], v[196:199]// 0000000088E8: D3CD00C4 07132572
	v_subrev_f32_dpp v81, v150, v81 quad_perm:[1,1,1,1] row_mask:0xf bank_mask:0xf// 0000000088F0: 06A2A2FA FF005596
	v_subrev_f32_dpp v82, v150, v82 quad_perm:[2,2,2,2] row_mask:0xf bank_mask:0xf// 0000000088F8: 06A4A4FA FF00AA96
	v_subrev_f32_dpp v83, v150, v83 quad_perm:[3,3,3,3] row_mask:0xf bank_mask:0xf// 000000008900: 06A6A6FA FF00FF96
	v_mfma_f32_16x16x16_f16 v[200:203], v[116:117], v[146:147], v[200:203]// 000000008908: D3CD00C8 07232574
	v_mul_f32_e32 v78, v54, v78                                // 000000008910: 0A9C9D36
	v_mul_f32_e32 v79, v55, v79                                // 000000008914: 0A9E9F37
	v_mul_f32_e32 v80, v56, v80                                // 000000008918: 0AA0A138
	v_mfma_f32_16x16x16_f16 v[204:207], v[118:119], v[146:147], v[204:207]// 00000000891C: D3CD00CC 07332576
	v_mul_f32_e32 v81, v57, v81                                // 000000008924: 0AA2A339
	v_mul_f32_e32 v82, v58, v82                                // 000000008928: 0AA4A53A
	v_mul_f32_e32 v83, v59, v83                                // 00000000892C: 0AA6A73B
	v_mfma_f32_16x16x16_f16 v[208:211], v[120:121], v[146:147], v[208:211]// 000000008930: D3CD00D0 07432578
	v_cvt_pkrtz_f16_f32 v75, v78, v79                          // 000000008938: D296004B 00029F4E
	v_cvt_pkrtz_f16_f32 v76, v80, v81                          // 000000008940: D296004C 0002A350
	v_cvt_pkrtz_f16_f32 v77, v82, v83                          // 000000008948: D296004D 0002A752
	v_mfma_f32_16x16x16_f16 v[212:215], v[122:123], v[146:147], v[212:215]// 000000008950: D3CD00D4 0753257A
	v_mov_b32_dpp v16, v75 quad_perm:[1,0,3,2] row_mask:0xf bank_mask:0xf// 000000008958: 7E2002FA FF00B14B
	v_perm_b32 v51, v16, v75, v15                              // 000000008960: D1ED0033 043E9710
	v_mov_b32_dpp v16, v76 quad_perm:[1,0,3,2] row_mask:0xf bank_mask:0xf// 000000008968: 7E2002FA FF00B14C
	v_mfma_f32_16x16x16_f16 v[216:219], v[108:109], v[148:149], v[216:219]// 000000008970: D3CD00D8 0763296C
	ds_write_b32 v18, v51 offset:20256                         // 000000008978: D81A4F20 00003312
	v_mfma_f32_16x16x16_f16 v[220:223], v[110:111], v[148:149], v[220:223]// 000000008980: D3CD00DC 0773296E
	v_perm_b32 v52, v16, v76, v15                              // 000000008988: D1ED0034 043E9910
	v_mov_b32_dpp v16, v77 quad_perm:[1,0,3,2] row_mask:0xf bank_mask:0xf// 000000008990: 7E2002FA FF00B14D
	v_perm_b32 v53, v16, v77, v15                              // 000000008998: D1ED0035 043E9B10
	v_mfma_f32_16x16x16_f16 v[224:227], v[112:113], v[148:149], v[224:227]// 0000000089A0: D3CD00E0 07832970
	ds_write_b32 v18, v52 offset:22016                         // 0000000089A8: D81A5600 00003412
	ds_write_b32 v18, v53 offset:22560                         // 0000000089B0: D81A5820 00003512
	v_mfma_f32_16x16x16_f16 v[228:231], v[114:115], v[148:149], v[228:231]// 0000000089B8: D3CD00E4 07932972
	v_mfma_f32_16x16x16_f16 v[232:235], v[116:117], v[148:149], v[232:235]// 0000000089C0: D3CD00E8 07A32974
	ds_write_b32 v13, v84 offset:4352                          // 0000000089C8: D81A1100 0000540D
	ds_write_b32 v13, v85 offset:5408                          // 0000000089D0: D81A1520 0000550D
	v_mfma_f32_16x16x16_f16 v[236:239], v[118:119], v[148:149], v[236:239]// 0000000089D8: D3CD00EC 07B32976
	v_mfma_f32_16x16x16_f16 v[240:243], v[120:121], v[148:149], v[240:243]// 0000000089E0: D3CD00F0 07C32978
	ds_write_b32 v13, v86 offset:4480                          // 0000000089E8: D81A1180 0000560D
	ds_write_b32 v13, v87 offset:5536                          // 0000000089F0: D81A15A0 0000570D
	v_mfma_f32_16x16x16_f16 v[244:247], v[122:123], v[148:149], v[244:247]// 0000000089F8: D3CD00F4 07D3297A
	s_nop 0                                                    // 000000008A00: BF800000
	s_nop 0                                                    // 000000008A04: BF800000
	s_nop 0                                                    // 000000008A08: BF800000
	s_barrier                                                  // 000000008A0C: BF8A0000
	v_mfma_f32_16x16x16_f16 a[160:163], a[144:145], v[72:73], a[160:163]// 000000008A10: D3CD80A0 0E829190
	ds_read_b32 v124, v21 offset:50688                         // 000000008A18: D86CC600 7C000015
	ds_read_b32 v150, v21 offset:50944                         // 000000008A20: D86CC700 96000015
	v_mfma_f32_16x16x16_f16 a[164:167], a[146:147], v[72:73], a[164:167]// 000000008A28: D3CD80A4 0E929192
	buffer_atomic_add_f32 v136, v7, s[32:35], 0 offen          // 000000008A30: E1341000 80088807
	v_mfma_f32_16x16x16_f16 a[168:171], a[148:149], v[72:73], a[168:171]// 000000008A38: D3CD80A8 0EA29194
	s_waitcnt lgkmcnt(6)                                       // 000000008A40: BF8CC67F
	s_barrier                                                  // 000000008A44: BF8A0000
	v_mfma_f32_16x16x16_f16 a[172:175], a[150:151], v[72:73], a[172:175]// 000000008A48: D3CD80AC 0EB29196
	v_mfma_f32_16x16x16_f16 a[176:179], a[152:153], v[72:73], a[176:179]// 000000008A50: D3CD80B0 0EC29198
	ds_read_b128 v[48:51], v17 offset:17408                    // 000000008A58: D9FE4400 30000011
	v_mfma_f32_16x16x16_f16 a[180:183], a[154:155], v[72:73], a[180:183]// 000000008A60: D3CD80B4 0ED2919A
	v_mfma_f32_16x16x16_f16 a[184:187], a[156:157], v[72:73], a[184:187]// 000000008A68: D3CD80B8 0EE2919C
	ds_read_b128 v[52:55], v17 offset:18560                    // 000000008A70: D9FE4880 34000011
	v_mfma_f32_16x16x16_f16 a[188:191], a[158:159], v[72:73], a[188:191]// 000000008A78: D3CD80BC 0EF2919E
	buffer_atomic_add_f32 v137, v8, s[32:35], 0 offen          // 000000008A80: E1341000 80088908
	v_mfma_f32_16x16x16_f16 a[192:195], a[144:145], v[74:75], a[192:195]// 000000008A88: D3CD80C0 0F029590
	ds_read_b128 v[56:59], v17 offset:19712                    // 000000008A90: D9FE4D00 38000011
	v_mfma_f32_16x16x16_f16 a[196:199], a[146:147], v[74:75], a[196:199]// 000000008A98: D3CD80C4 0F129592
	v_mfma_f32_16x16x16_f16 a[200:203], a[148:149], v[74:75], a[200:203]// 000000008AA0: D3CD80C8 0F229594
	ds_read_b128 v[60:63], v17 offset:20864                    // 000000008AA8: D9FE5180 3C000011
	v_mfma_f32_16x16x16_f16 a[204:207], a[150:151], v[74:75], a[204:207]// 000000008AB0: D3CD80CC 0F329596
	v_mfma_f32_16x16x16_f16 a[208:211], a[152:153], v[74:75], a[208:211]// 000000008AB8: D3CD80D0 0F429598
	ds_read_b128 v[64:67], v17 offset:22016                    // 000000008AC0: D9FE5600 40000011
	v_mfma_f32_16x16x16_f16 a[212:215], a[154:155], v[74:75], a[212:215]// 000000008AC8: D3CD80D4 0F52959A
	buffer_atomic_add_f32 v138, v7, s[32:35], 0 offen offset:128// 000000008AD0: E1341080 80088A07
	v_mfma_f32_16x16x16_f16 a[216:219], a[156:157], v[74:75], a[216:219]// 000000008AD8: D3CD80D8 0F62959C
	ds_read_b128 v[68:71], v17 offset:23168                    // 000000008AE0: D9FE5A80 44000011
	v_mfma_f32_16x16x16_f16 a[220:223], a[158:159], v[74:75], a[220:223]// 000000008AE8: D3CD80DC 0F72959E
	v_mfma_f32_16x16x16_f16 a[224:227], a[144:145], v[76:77], a[224:227]// 000000008AF0: D3CD80E0 0F829990
	ds_write_b32 v13, v88 offset:13056                         // 000000008AF8: D81A3300 0000580D
	v_mfma_f32_16x16x16_f16 a[228:231], a[146:147], v[76:77], a[228:231]// 000000008B00: D3CD80E4 0F929992
	v_mfma_f32_16x16x16_f16 a[232:235], a[148:149], v[76:77], a[232:235]// 000000008B08: D3CD80E8 0FA29994
	ds_write_b32 v13, v89 offset:14112                         // 000000008B10: D81A3720 0000590D
	v_mfma_f32_16x16x16_f16 a[236:239], a[150:151], v[76:77], a[236:239]// 000000008B18: D3CD80EC 0FB29996
	buffer_atomic_add_f32 v139, v8, s[32:35], 0 offen offset:128// 000000008B20: E1341080 80088B08
	v_mfma_f32_16x16x16_f16 a[240:243], a[152:153], v[76:77], a[240:243]// 000000008B28: D3CD80F0 0FC29998
	ds_write_b32 v13, v90 offset:13184                         // 000000008B30: D81A3380 00005A0D
	v_mfma_f32_16x16x16_f16 a[244:247], a[154:155], v[76:77], a[244:247]// 000000008B38: D3CD80F4 0FD2999A
	v_mfma_f32_16x16x16_f16 a[248:251], a[156:157], v[76:77], a[248:251]// 000000008B40: D3CD80F8 0FE2999C
	ds_write_b32 v13, v91 offset:14240                         // 000000008B48: D81A37A0 00005B0D
	v_mfma_f32_16x16x16_f16 a[252:255], a[158:159], v[76:77], a[252:255]// 000000008B50: D3CD80FC 0FF2999E
	s_waitcnt vmcnt(8) lgkmcnt(4)                              // 000000008B58: BF8C0478
	s_barrier                                                  // 000000008B5C: BF8A0000
	v_mfma_f32_16x16x16_f16 v[128:131], v[48:49], a[48:49], 0  // 000000008B60: D3CD0080 12026130
	ds_read_b128 a[144:147], v10                               // 000000008B68: DBFE0000 9000000A
	buffer_load_dword v32, v1, s[8:11], 0 idxen                // 000000008B70: E0502000 80022001
	v_mfma_f32_16x16x16_f16 v[128:131], v[50:51], a[52:53], v[128:131]// 000000008B78: D3CD0080 16026932
	v_mul_f32_e32 v124, s48, v124                              // 000000008B80: 0AF8F830
	s_nop 0                                                    // 000000008B84: BF800000
	v_mfma_f32_16x16x16_f16 v[128:131], v[52:53], a[56:57], v[128:131]// 000000008B88: D3CD0080 16027134
	ds_read_b128 a[148:151], v10 offset:512                    // 000000008B90: DBFE0200 9400000A
	buffer_load_dword v33, v2, s[8:11], 0 idxen                // 000000008B98: E0502000 80022102
	v_mfma_f32_16x16x16_f16 v[128:131], v[54:55], a[60:61], v[128:131]// 000000008BA0: D3CD0080 16027936
	v_mfma_f32_16x16x16_f16 v[128:131], v[56:57], a[64:65], v[128:131]// 000000008BA8: D3CD0080 16028138
	ds_read_b128 a[152:155], v10 offset:2176                   // 000000008BB0: DBFE0880 9800000A
	buffer_load_dword v34, v3, s[8:11], 0 idxen                // 000000008BB8: E0502000 80022203
	v_mfma_f32_16x16x16_f16 v[128:131], v[58:59], a[68:69], v[128:131]// 000000008BC0: D3CD0080 1602893A
	v_perm_b32 v84, v37, v36, s63                              // 000000008BC8: D1ED0054 00FE4925
	v_perm_b32 v85, v37, v36, s64                              // 000000008BD0: D1ED0055 01024925
	v_mfma_f32_16x16x16_f16 v[128:131], v[60:61], a[72:73], v[128:131]// 000000008BD8: D3CD0080 1602913C
	ds_read_b128 a[156:159], v10 offset:2688                   // 000000008BE0: DBFE0A80 9C00000A
	buffer_load_dword v35, v4, s[8:11], 0 idxen                // 000000008BE8: E0502000 80022304
	v_mfma_f32_16x16x16_f16 v[128:131], v[62:63], a[76:77], v[128:131]// 000000008BF0: D3CD0080 1602993E
	v_perm_b32 v86, v39, v38, s63                              // 000000008BF8: D1ED0056 00FE4D27
	v_perm_b32 v87, v39, v38, s64                              // 000000008C00: D1ED0057 01024D27
	v_mfma_f32_16x16x16_f16 v[128:131], v[64:65], a[80:81], v[128:131]// 000000008C08: D3CD0080 1602A140
	ds_read_b128 v[92:95], v10 offset:8704                     // 000000008C10: D9FE2200 5C00000A
	buffer_load_dword v40, v248, s[20:23], 0 idxen             // 000000008C18: E0502000 800528F8
	v_mfma_f32_16x16x16_f16 v[128:131], v[66:67], a[84:85], v[128:131]// 000000008C20: D3CD0080 1602A942
	v_perm_b32 v88, v45, v44, s63                              // 000000008C28: D1ED0058 00FE592D
	v_perm_b32 v89, v45, v44, s64                              // 000000008C30: D1ED0059 0102592D
	v_mfma_f32_16x16x16_f16 v[128:131], v[68:69], a[88:89], v[128:131]// 000000008C38: D3CD0080 1602B144
	ds_read_b128 v[96:99], v10 offset:9216                     // 000000008C40: D9FE2400 6000000A
	buffer_load_dword v41, v249, s[20:23], 0 idxen             // 000000008C48: E0502000 800529F9
	v_mfma_f32_16x16x16_f16 v[128:131], v[70:71], a[92:93], v[128:131]// 000000008C50: D3CD0080 1602B946
	v_perm_b32 v90, v47, v46, s63                              // 000000008C58: D1ED005A 00FE5D2F
	v_perm_b32 v91, v47, v46, s64                              // 000000008C60: D1ED005B 01025D2F
	v_mfma_f32_16x16x16_f16 v[132:135], v[48:49], a[50:51], 0  // 000000008C68: D3CD0084 12026530
	ds_read_b128 v[100:103], v10 offset:10880                  // 000000008C70: D9FE2A80 6400000A
	buffer_load_dword v42, v250, s[20:23], 0 idxen             // 000000008C78: E0502000 80052AFA
	v_mfma_f32_16x16x16_f16 v[132:135], v[50:51], a[54:55], v[132:135]// 000000008C80: D3CD0084 16126D32
	v_mov_b32_dpp v127, v124 quad_perm:[3,3,3,3] row_mask:0xf bank_mask:0xf// 000000008C88: 7EFE02FA FF00FF7C
	v_mov_b32_dpp v126, v124 quad_perm:[2,2,2,2] row_mask:0xf bank_mask:0xf// 000000008C90: 7EFC02FA FF00AA7C
	v_mfma_f32_16x16x16_f16 v[132:135], v[52:53], a[58:59], v[132:135]// 000000008C98: D3CD0084 16127534
	ds_read_b128 v[104:107], v10 offset:11392                  // 000000008CA0: D9FE2C80 6800000A
	buffer_load_dword v43, v251, s[20:23], 0 idxen             // 000000008CA8: E0502000 80052BFB
	v_mfma_f32_16x16x16_f16 v[132:135], v[54:55], a[62:63], v[132:135]// 000000008CB0: D3CD0084 16127D36
	v_mov_b32_dpp v125, v124 quad_perm:[1,1,1,1] row_mask:0xf bank_mask:0xf// 000000008CB8: 7EFA02FA FF00557C
	v_mov_b32_dpp v124, v124 quad_perm:[0,0,0,0] row_mask:0xf bank_mask:0xf// 000000008CC0: 7EF802FA FF00007C
	s_add_u32 s60, 64, s59                                     // 000000008CC8: 803C3BC0
	v_mfma_f32_16x16x16_f16 v[132:135], v[56:57], a[66:67], v[132:135]// 000000008CCC: D3CD0084 16128538
	buffer_load_dword v9, s[24:27], 0 idxen lds                // 000000008CD4: E0512000 80060009
	v_mfma_f32_16x16x16_f16 v[132:135], v[58:59], a[70:71], v[132:135]// 000000008CDC: D3CD0084 16128D3A
	s_cmp_lt_u32 s60, s58                                      // 000000008CE4: BF0A3A3C
	s_cselect_b32 s68, s68, 0                                  // 000000008CE8: 85448044
	s_cselect_b32 s100, s100, 0                                // 000000008CEC: 85648064
	s_cselect_b32 s69, s69, 0                                  // 000000008CF0: 85458045
	v_mfma_f32_16x16x16_f16 v[132:135], v[60:61], a[74:75], v[132:135]// 000000008CF4: D3CD0084 1612953C
	v_add_u32_e32 v1, s68, v1                                  // 000000008CFC: 68020244
	v_add_u32_e32 v2, s68, v2                                  // 000000008D00: 68040444
	v_add_u32_e32 v3, s68, v3                                  // 000000008D04: 68060644
	v_add_u32_e32 v4, s68, v4                                  // 000000008D08: 68080844
	v_mfma_f32_16x16x16_f16 v[132:135], v[62:63], a[78:79], v[132:135]// 000000008D0C: D3CD0084 16129D3E
	v_add_u32_e32 v248, s100, v248                             // 000000008D14: 69F1F064
	v_add_u32_e32 v249, s100, v249                             // 000000008D18: 69F3F264
	v_add_u32_e32 v250, s100, v250                             // 000000008D1C: 69F5F464
	v_add_u32_e32 v251, s100, v251                             // 000000008D20: 69F7F664
	v_mfma_f32_16x16x16_f16 v[132:135], v[64:65], a[82:83], v[132:135]// 000000008D24: D3CD0084 1612A540
	s_mov_b32 m0, s79                                          // 000000008D2C: BEFC004F
	v_add_u32_e32 v9, s69, v9                                  // 000000008D30: 68121245
	v_mfma_f32_16x16x16_f16 v[132:135], v[66:67], a[86:87], v[132:135]// 000000008D34: D3CD0084 1612AD42
	s_cmp_ge_u32 s59, s73                                      // 000000008D3C: BF09493B
	s_cselect_b32 s66, s67, s66                                // 000000008D40: 85424243
	v_mfma_f32_16x16x16_f16 v[132:135], v[68:69], a[90:91], v[132:135]// 000000008D44: D3CD0084 1612B544
	s_addk_i32 s59, 0x10                                       // 000000008D4C: B73B0010
	s_nop 0                                                    // 000000008D50: BF800000
	s_cmp_lt_i32 s59, s58                                      // 000000008D54: BF043A3B
	v_mfma_f32_16x16x16_f16 v[132:135], v[70:71], a[94:95], v[132:135]// 000000008D58: D3CD0084 1612BD46
	s_cbranch_scc0 label_0E3E                                  // 000000008D60: BF84FA5B
	s_branch label_0E45                                        // 000000008D64: BF82FA61

0000000000008d68 <label_13EE>:
	buffer_atomic_add_f32 v140, v7, s[32:35], 0 offen offset:256// 000000008D68: E1341100 80088C07
	buffer_atomic_add_f32 v141, v8, s[32:35], 0 offen offset:256// 000000008D70: E1341100 80088D08
	buffer_atomic_add_f32 v142, v7, s[32:35], 0 offen offset:384// 000000008D78: E1341180 80088E07
	buffer_atomic_add_f32 v143, v8, s[32:35], 0 offen offset:384// 000000008D80: E1341180 80088F08
	v_add_u32_e32 v7, s66, v7                                  // 000000008D88: 680E0E42
	v_add_u32_e32 v8, s66, v8                                  // 000000008D8C: 68101042
	v_lshrrev_b32_e32 v28, 5, v0                               // 000000008D90: 20380085
	v_mul_i32_i24_e32 v25, 0x42, v28                           // 000000008D94: 0C3238FF 00000042
	v_and_b32_e32 v28, 31, v0                                  // 000000008D9C: 2638009F
	v_mul_i32_i24_e32 v29, 2, v28                              // 000000008DA0: 0C3A3882
	v_add_u32_e32 v25, v29, v25                                // 000000008DA4: 6832331D
	s_mul_i32 s60, s46, 0x420                                  // 000000008DA8: 923CFF2E 00000420
	v_add_u32_e32 v25, s60, v25                                // 000000008DB0: 6832323C
	v_lshlrev_b32_e32 v25, 2, v25                              // 000000008DB4: 24323282
	v_mul_f32_e32 v128, s47, v128                              // 000000008DB8: 0B01002F
	v_mul_f32_e32 v129, s47, v129                              // 000000008DBC: 0B03022F
	v_mul_f32_e32 v130, s47, v130                              // 000000008DC0: 0B05042F
	v_mul_f32_e32 v131, s47, v131                              // 000000008DC4: 0B07062F
	v_mul_f32_e32 v132, s47, v132                              // 000000008DC8: 0B09082F
	v_mul_f32_e32 v133, s47, v133                              // 000000008DCC: 0B0B0A2F
	v_mul_f32_e32 v134, s47, v134                              // 000000008DD0: 0B0D0C2F
	v_mul_f32_e32 v135, s47, v135                              // 000000008DD4: 0B0F0E2F
	ds_write_b64 v20, v[128:129] offset:24320                  // 000000008DD8: D89A5F00 00008014
	ds_write_b64 v20, v[130:131] offset:24832                  // 000000008DE0: D89A6100 00008214
	ds_write_b64 v20, v[132:133] offset:25344                  // 000000008DE8: D89A6300 00008414
	ds_write_b64 v20, v[134:135] offset:25856                  // 000000008DF0: D89A6500 00008614
	s_waitcnt lgkmcnt(0)                                       // 000000008DF8: BF8CC07F
	s_barrier                                                  // 000000008DFC: BF8A0000
	ds_read_b64 v[136:137], v19 offset:24320                   // 000000008E00: D8EC5F00 88000013
	ds_read_b64 v[138:139], v19 offset:26368                   // 000000008E08: D8EC6700 8A000013
	ds_read_b64 v[140:141], v19 offset:28416                   // 000000008E10: D8EC6F00 8C000013
	ds_read_b64 v[142:143], v19 offset:30464                   // 000000008E18: D8EC7700 8E000013
	s_waitcnt lgkmcnt(0)                                       // 000000008E20: BF8CC07F
	s_barrier                                                  // 000000008E24: BF8A0000
	buffer_atomic_add_f32 v136, v7, s[32:35], 0 offen          // 000000008E28: E1341000 80088807
	buffer_atomic_add_f32 v137, v8, s[32:35], 0 offen          // 000000008E30: E1341000 80088908
	buffer_atomic_add_f32 v138, v7, s[32:35], 0 offen offset:128// 000000008E38: E1341080 80088A07
	buffer_atomic_add_f32 v139, v8, s[32:35], 0 offen offset:128// 000000008E40: E1341080 80088B08
	buffer_atomic_add_f32 v140, v7, s[32:35], 0 offen offset:256// 000000008E48: E1341100 80088C07
	buffer_atomic_add_f32 v141, v8, s[32:35], 0 offen offset:256// 000000008E50: E1341100 80088D08
	buffer_atomic_add_f32 v142, v7, s[32:35], 0 offen offset:384// 000000008E58: E1341180 80088E07
	buffer_atomic_add_f32 v143, v8, s[32:35], 0 offen offset:384// 000000008E60: E1341180 80088F08
	v_lshrrev_b32_e32 v28, 4, v0                               // 000000008E68: 20380084
	v_mul_i32_i24_e32 v24, 2, v28                              // 000000008E6C: 0C303882
	v_and_b32_e32 v28, 15, v0                                  // 000000008E70: 2638008F
	v_mul_i32_i24_e32 v29, 0x42, v28                           // 000000008E74: 0C3A38FF 00000042
	v_add_u32_e32 v24, v29, v24                                // 000000008E7C: 6830311D
	s_mul_i32 s60, s46, 0x420                                  // 000000008E80: 923CFF2E 00000420
	v_add_u32_e32 v24, s60, v24                                // 000000008E88: 6830303C
	v_lshlrev_b32_e32 v24, 2, v24                              // 000000008E8C: 24303082
	v_accvgpr_read_b32 v28, a160                               // 000000008E90: D3D8401C 180001A0
	v_accvgpr_read_b32 v29, a161                               // 000000008E98: D3D8401D 180001A1
	v_mul_f32_e32 v28, s47, v28                                // 000000008EA0: 0A38382F
	v_mul_f32_e32 v29, s47, v29                                // 000000008EA4: 0A3A3A2F
	v_cvt_pkrtz_f16_f32 v48, v28, v29                          // 000000008EA8: D2960030 00023B1C
	v_accvgpr_read_b32 v28, a162                               // 000000008EB0: D3D8401C 180001A2
	v_accvgpr_read_b32 v29, a163                               // 000000008EB8: D3D8401D 180001A3
	v_mul_f32_e32 v28, s47, v28                                // 000000008EC0: 0A38382F
	v_mul_f32_e32 v29, s47, v29                                // 000000008EC4: 0A3A3A2F
	v_cvt_pkrtz_f16_f32 v49, v28, v29                          // 000000008EC8: D2960031 00023B1C
	v_accvgpr_read_b32 v28, a164                               // 000000008ED0: D3D8401C 180001A4
	v_accvgpr_read_b32 v29, a165                               // 000000008ED8: D3D8401D 180001A5
	v_mul_f32_e32 v28, s47, v28                                // 000000008EE0: 0A38382F
	v_mul_f32_e32 v29, s47, v29                                // 000000008EE4: 0A3A3A2F
	v_cvt_pkrtz_f16_f32 v50, v28, v29                          // 000000008EE8: D2960032 00023B1C
	v_accvgpr_read_b32 v28, a166                               // 000000008EF0: D3D8401C 180001A6
	v_accvgpr_read_b32 v29, a167                               // 000000008EF8: D3D8401D 180001A7
	v_mul_f32_e32 v28, s47, v28                                // 000000008F00: 0A38382F
	v_mul_f32_e32 v29, s47, v29                                // 000000008F04: 0A3A3A2F
	v_cvt_pkrtz_f16_f32 v51, v28, v29                          // 000000008F08: D2960033 00023B1C
	v_accvgpr_read_b32 v28, a168                               // 000000008F10: D3D8401C 180001A8
	v_accvgpr_read_b32 v29, a169                               // 000000008F18: D3D8401D 180001A9
	v_mul_f32_e32 v28, s47, v28                                // 000000008F20: 0A38382F
	v_mul_f32_e32 v29, s47, v29                                // 000000008F24: 0A3A3A2F
	v_cvt_pkrtz_f16_f32 v52, v28, v29                          // 000000008F28: D2960034 00023B1C
	v_accvgpr_read_b32 v28, a170                               // 000000008F30: D3D8401C 180001AA
	v_accvgpr_read_b32 v29, a171                               // 000000008F38: D3D8401D 180001AB
	v_mul_f32_e32 v28, s47, v28                                // 000000008F40: 0A38382F
	v_mul_f32_e32 v29, s47, v29                                // 000000008F44: 0A3A3A2F
	v_cvt_pkrtz_f16_f32 v53, v28, v29                          // 000000008F48: D2960035 00023B1C
	v_accvgpr_read_b32 v28, a172                               // 000000008F50: D3D8401C 180001AC
	v_accvgpr_read_b32 v29, a173                               // 000000008F58: D3D8401D 180001AD
	v_mul_f32_e32 v28, s47, v28                                // 000000008F60: 0A38382F
	v_mul_f32_e32 v29, s47, v29                                // 000000008F64: 0A3A3A2F
	v_cvt_pkrtz_f16_f32 v54, v28, v29                          // 000000008F68: D2960036 00023B1C
	v_accvgpr_read_b32 v28, a174                               // 000000008F70: D3D8401C 180001AE
	v_accvgpr_read_b32 v29, a175                               // 000000008F78: D3D8401D 180001AF
	v_mul_f32_e32 v28, s47, v28                                // 000000008F80: 0A38382F
	v_mul_f32_e32 v29, s47, v29                                // 000000008F84: 0A3A3A2F
	v_cvt_pkrtz_f16_f32 v55, v28, v29                          // 000000008F88: D2960037 00023B1C
	v_accvgpr_read_b32 v28, a176                               // 000000008F90: D3D8401C 180001B0
	v_accvgpr_read_b32 v29, a177                               // 000000008F98: D3D8401D 180001B1
	v_mul_f32_e32 v28, s47, v28                                // 000000008FA0: 0A38382F
	v_mul_f32_e32 v29, s47, v29                                // 000000008FA4: 0A3A3A2F
	v_cvt_pkrtz_f16_f32 v56, v28, v29                          // 000000008FA8: D2960038 00023B1C
	v_accvgpr_read_b32 v28, a178                               // 000000008FB0: D3D8401C 180001B2
	v_accvgpr_read_b32 v29, a179                               // 000000008FB8: D3D8401D 180001B3
	v_mul_f32_e32 v28, s47, v28                                // 000000008FC0: 0A38382F
	v_mul_f32_e32 v29, s47, v29                                // 000000008FC4: 0A3A3A2F
	v_cvt_pkrtz_f16_f32 v57, v28, v29                          // 000000008FC8: D2960039 00023B1C
	v_accvgpr_read_b32 v28, a180                               // 000000008FD0: D3D8401C 180001B4
	v_accvgpr_read_b32 v29, a181                               // 000000008FD8: D3D8401D 180001B5
	v_mul_f32_e32 v28, s47, v28                                // 000000008FE0: 0A38382F
	v_mul_f32_e32 v29, s47, v29                                // 000000008FE4: 0A3A3A2F
	v_cvt_pkrtz_f16_f32 v58, v28, v29                          // 000000008FE8: D296003A 00023B1C
	v_accvgpr_read_b32 v28, a182                               // 000000008FF0: D3D8401C 180001B6
	v_accvgpr_read_b32 v29, a183                               // 000000008FF8: D3D8401D 180001B7
	v_mul_f32_e32 v28, s47, v28                                // 000000009000: 0A38382F
	v_mul_f32_e32 v29, s47, v29                                // 000000009004: 0A3A3A2F
	v_cvt_pkrtz_f16_f32 v59, v28, v29                          // 000000009008: D296003B 00023B1C
	v_accvgpr_read_b32 v28, a184                               // 000000009010: D3D8401C 180001B8
	v_accvgpr_read_b32 v29, a185                               // 000000009018: D3D8401D 180001B9
	v_mul_f32_e32 v28, s47, v28                                // 000000009020: 0A38382F
	v_mul_f32_e32 v29, s47, v29                                // 000000009024: 0A3A3A2F
	v_cvt_pkrtz_f16_f32 v60, v28, v29                          // 000000009028: D296003C 00023B1C
	v_accvgpr_read_b32 v28, a186                               // 000000009030: D3D8401C 180001BA
	v_accvgpr_read_b32 v29, a187                               // 000000009038: D3D8401D 180001BB
	v_mul_f32_e32 v28, s47, v28                                // 000000009040: 0A38382F
	v_mul_f32_e32 v29, s47, v29                                // 000000009044: 0A3A3A2F
	v_cvt_pkrtz_f16_f32 v61, v28, v29                          // 000000009048: D296003D 00023B1C
	v_accvgpr_read_b32 v28, a188                               // 000000009050: D3D8401C 180001BC
	v_accvgpr_read_b32 v29, a189                               // 000000009058: D3D8401D 180001BD
	v_mul_f32_e32 v28, s47, v28                                // 000000009060: 0A38382F
	v_mul_f32_e32 v29, s47, v29                                // 000000009064: 0A3A3A2F
	v_cvt_pkrtz_f16_f32 v62, v28, v29                          // 000000009068: D296003E 00023B1C
	v_accvgpr_read_b32 v28, a190                               // 000000009070: D3D8401C 180001BE
	v_accvgpr_read_b32 v29, a191                               // 000000009078: D3D8401D 180001BF
	v_mul_f32_e32 v28, s47, v28                                // 000000009080: 0A38382F
	v_mul_f32_e32 v29, s47, v29                                // 000000009084: 0A3A3A2F
	v_cvt_pkrtz_f16_f32 v63, v28, v29                          // 000000009088: D296003F 00023B1C
	ds_write_b64 v25, v[48:49]                                 // 000000009090: D89A0000 00003019
	ds_write_b64 v25, v[50:51] offset:528                      // 000000009098: D89A0210 00003219
	ds_write_b64 v25, v[52:53] offset:1056                     // 0000000090A0: D89A0420 00003419
	ds_write_b64 v25, v[54:55] offset:1584                     // 0000000090A8: D89A0630 00003619
	ds_write_b64 v25, v[56:57] offset:2112                     // 0000000090B0: D89A0840 00003819
	ds_write_b64 v25, v[58:59] offset:2640                     // 0000000090B8: D89A0A50 00003A19
	ds_write_b64 v25, v[60:61] offset:3168                     // 0000000090C0: D89A0C60 00003C19
	ds_write_b64 v25, v[62:63] offset:3696                     // 0000000090C8: D89A0E70 00003E19
	s_waitcnt lgkmcnt(0)                                       // 0000000090D0: BF8CC07F
	s_barrier                                                  // 0000000090D4: BF8A0000
	ds_read_b64 v[48:49], v24                                  // 0000000090D8: D8EC0000 30000018
	ds_read_b64 v[50:51], v24 offset:128                       // 0000000090E0: D8EC0080 32000018
	ds_read_b64 v[52:53], v24 offset:32                        // 0000000090E8: D8EC0020 34000018
	ds_read_b64 v[54:55], v24 offset:160                       // 0000000090F0: D8EC00A0 36000018
	ds_read_b64 v[56:57], v24 offset:64                        // 0000000090F8: D8EC0040 38000018
	ds_read_b64 v[58:59], v24 offset:192                       // 000000009100: D8EC00C0 3A000018
	ds_read_b64 v[60:61], v24 offset:96                        // 000000009108: D8EC0060 3C000018
	ds_read_b64 v[62:63], v24 offset:224                       // 000000009110: D8EC00E0 3E000018
	s_waitcnt lgkmcnt(0)                                       // 000000009118: BF8CC07F
	s_mov_b32 s70, s52                                         // 00000000911C: BEC60034
	buffer_store_dwordx4 v[48:51], v5, s[36:39], 0 idxen       // 000000009120: E07C2000 80093005
	v_add_u32_e32 v5, s70, v5                                  // 000000009128: 680A0A46
	buffer_store_dwordx4 v[52:55], v5, s[36:39], 0 idxen       // 00000000912C: E07C2000 80093405
	v_add_u32_e32 v5, s70, v5                                  // 000000009134: 680A0A46
	buffer_store_dwordx4 v[56:59], v5, s[36:39], 0 idxen       // 000000009138: E07C2000 80093805
	v_add_u32_e32 v5, s70, v5                                  // 000000009140: 680A0A46
	buffer_store_dwordx4 v[60:63], v5, s[36:39], 0 idxen       // 000000009144: E07C2000 80093C05
	v_add_u32_e32 v5, s70, v5                                  // 00000000914C: 680A0A46
	s_mul_i32 s60, 12, s70                                     // 000000009150: 923C468C
	v_add_u32_e32 v5, s60, v5                                  // 000000009154: 680A0A3C
	s_barrier                                                  // 000000009158: BF8A0000
	s_cmp_ge_i32 1, s72                                        // 00000000915C: BF034881
	s_cbranch_scc1 label_1657                                  // 000000009160: BF85016A
	v_accvgpr_read_b32 v28, a192                               // 000000009164: D3D8401C 180001C0
	v_accvgpr_read_b32 v29, a193                               // 00000000916C: D3D8401D 180001C1
	v_mul_f32_e32 v28, s47, v28                                // 000000009174: 0A38382F
	v_mul_f32_e32 v29, s47, v29                                // 000000009178: 0A3A3A2F
	v_cvt_pkrtz_f16_f32 v64, v28, v29                          // 00000000917C: D2960040 00023B1C
	v_accvgpr_read_b32 v28, a194                               // 000000009184: D3D8401C 180001C2
	v_accvgpr_read_b32 v29, a195                               // 00000000918C: D3D8401D 180001C3
	v_mul_f32_e32 v28, s47, v28                                // 000000009194: 0A38382F
	v_mul_f32_e32 v29, s47, v29                                // 000000009198: 0A3A3A2F
	v_cvt_pkrtz_f16_f32 v65, v28, v29                          // 00000000919C: D2960041 00023B1C
	v_accvgpr_read_b32 v28, a196                               // 0000000091A4: D3D8401C 180001C4
	v_accvgpr_read_b32 v29, a197                               // 0000000091AC: D3D8401D 180001C5
	v_mul_f32_e32 v28, s47, v28                                // 0000000091B4: 0A38382F
	v_mul_f32_e32 v29, s47, v29                                // 0000000091B8: 0A3A3A2F
	v_cvt_pkrtz_f16_f32 v66, v28, v29                          // 0000000091BC: D2960042 00023B1C
	v_accvgpr_read_b32 v28, a198                               // 0000000091C4: D3D8401C 180001C6
	v_accvgpr_read_b32 v29, a199                               // 0000000091CC: D3D8401D 180001C7
	v_mul_f32_e32 v28, s47, v28                                // 0000000091D4: 0A38382F
	v_mul_f32_e32 v29, s47, v29                                // 0000000091D8: 0A3A3A2F
	v_cvt_pkrtz_f16_f32 v67, v28, v29                          // 0000000091DC: D2960043 00023B1C
	v_accvgpr_read_b32 v28, a200                               // 0000000091E4: D3D8401C 180001C8
	v_accvgpr_read_b32 v29, a201                               // 0000000091EC: D3D8401D 180001C9
	v_mul_f32_e32 v28, s47, v28                                // 0000000091F4: 0A38382F
	v_mul_f32_e32 v29, s47, v29                                // 0000000091F8: 0A3A3A2F
	v_cvt_pkrtz_f16_f32 v68, v28, v29                          // 0000000091FC: D2960044 00023B1C
	v_accvgpr_read_b32 v28, a202                               // 000000009204: D3D8401C 180001CA
	v_accvgpr_read_b32 v29, a203                               // 00000000920C: D3D8401D 180001CB
	v_mul_f32_e32 v28, s47, v28                                // 000000009214: 0A38382F
	v_mul_f32_e32 v29, s47, v29                                // 000000009218: 0A3A3A2F
	v_cvt_pkrtz_f16_f32 v69, v28, v29                          // 00000000921C: D2960045 00023B1C
	v_accvgpr_read_b32 v28, a204                               // 000000009224: D3D8401C 180001CC
	v_accvgpr_read_b32 v29, a205                               // 00000000922C: D3D8401D 180001CD
	v_mul_f32_e32 v28, s47, v28                                // 000000009234: 0A38382F
	v_mul_f32_e32 v29, s47, v29                                // 000000009238: 0A3A3A2F
	v_cvt_pkrtz_f16_f32 v70, v28, v29                          // 00000000923C: D2960046 00023B1C
	v_accvgpr_read_b32 v28, a206                               // 000000009244: D3D8401C 180001CE
	v_accvgpr_read_b32 v29, a207                               // 00000000924C: D3D8401D 180001CF
	v_mul_f32_e32 v28, s47, v28                                // 000000009254: 0A38382F
	v_mul_f32_e32 v29, s47, v29                                // 000000009258: 0A3A3A2F
	v_cvt_pkrtz_f16_f32 v71, v28, v29                          // 00000000925C: D2960047 00023B1C
	v_accvgpr_read_b32 v28, a208                               // 000000009264: D3D8401C 180001D0
	v_accvgpr_read_b32 v29, a209                               // 00000000926C: D3D8401D 180001D1
	v_mul_f32_e32 v28, s47, v28                                // 000000009274: 0A38382F
	v_mul_f32_e32 v29, s47, v29                                // 000000009278: 0A3A3A2F
	v_cvt_pkrtz_f16_f32 v72, v28, v29                          // 00000000927C: D2960048 00023B1C
	v_accvgpr_read_b32 v28, a210                               // 000000009284: D3D8401C 180001D2
	v_accvgpr_read_b32 v29, a211                               // 00000000928C: D3D8401D 180001D3
	v_mul_f32_e32 v28, s47, v28                                // 000000009294: 0A38382F
	v_mul_f32_e32 v29, s47, v29                                // 000000009298: 0A3A3A2F
	v_cvt_pkrtz_f16_f32 v73, v28, v29                          // 00000000929C: D2960049 00023B1C
	v_accvgpr_read_b32 v28, a212                               // 0000000092A4: D3D8401C 180001D4
	v_accvgpr_read_b32 v29, a213                               // 0000000092AC: D3D8401D 180001D5
	v_mul_f32_e32 v28, s47, v28                                // 0000000092B4: 0A38382F
	v_mul_f32_e32 v29, s47, v29                                // 0000000092B8: 0A3A3A2F
	v_cvt_pkrtz_f16_f32 v74, v28, v29                          // 0000000092BC: D296004A 00023B1C
	v_accvgpr_read_b32 v28, a214                               // 0000000092C4: D3D8401C 180001D6
	v_accvgpr_read_b32 v29, a215                               // 0000000092CC: D3D8401D 180001D7
	v_mul_f32_e32 v28, s47, v28                                // 0000000092D4: 0A38382F
	v_mul_f32_e32 v29, s47, v29                                // 0000000092D8: 0A3A3A2F
	v_cvt_pkrtz_f16_f32 v75, v28, v29                          // 0000000092DC: D296004B 00023B1C
	v_accvgpr_read_b32 v28, a216                               // 0000000092E4: D3D8401C 180001D8
	v_accvgpr_read_b32 v29, a217                               // 0000000092EC: D3D8401D 180001D9
	v_mul_f32_e32 v28, s47, v28                                // 0000000092F4: 0A38382F
	v_mul_f32_e32 v29, s47, v29                                // 0000000092F8: 0A3A3A2F
	v_cvt_pkrtz_f16_f32 v76, v28, v29                          // 0000000092FC: D296004C 00023B1C
	v_accvgpr_read_b32 v28, a218                               // 000000009304: D3D8401C 180001DA
	v_accvgpr_read_b32 v29, a219                               // 00000000930C: D3D8401D 180001DB
	v_mul_f32_e32 v28, s47, v28                                // 000000009314: 0A38382F
	v_mul_f32_e32 v29, s47, v29                                // 000000009318: 0A3A3A2F
	v_cvt_pkrtz_f16_f32 v77, v28, v29                          // 00000000931C: D296004D 00023B1C
	v_accvgpr_read_b32 v28, a220                               // 000000009324: D3D8401C 180001DC
	v_accvgpr_read_b32 v29, a221                               // 00000000932C: D3D8401D 180001DD
	v_mul_f32_e32 v28, s47, v28                                // 000000009334: 0A38382F
	v_mul_f32_e32 v29, s47, v29                                // 000000009338: 0A3A3A2F
	v_cvt_pkrtz_f16_f32 v78, v28, v29                          // 00000000933C: D296004E 00023B1C
	v_accvgpr_read_b32 v28, a222                               // 000000009344: D3D8401C 180001DE
	v_accvgpr_read_b32 v29, a223                               // 00000000934C: D3D8401D 180001DF
	v_mul_f32_e32 v28, s47, v28                                // 000000009354: 0A38382F
	v_mul_f32_e32 v29, s47, v29                                // 000000009358: 0A3A3A2F
	v_cvt_pkrtz_f16_f32 v79, v28, v29                          // 00000000935C: D296004F 00023B1C
	ds_write_b64 v25, v[64:65] offset:16896                    // 000000009364: D89A4200 00004019
	ds_write_b64 v25, v[66:67] offset:17424                    // 00000000936C: D89A4410 00004219
	ds_write_b64 v25, v[68:69] offset:17952                    // 000000009374: D89A4620 00004419
	ds_write_b64 v25, v[70:71] offset:18480                    // 00000000937C: D89A4830 00004619
	ds_write_b64 v25, v[72:73] offset:19008                    // 000000009384: D89A4A40 00004819
	ds_write_b64 v25, v[74:75] offset:19536                    // 00000000938C: D89A4C50 00004A19
	ds_write_b64 v25, v[76:77] offset:20064                    // 000000009394: D89A4E60 00004C19
	ds_write_b64 v25, v[78:79] offset:20592                    // 00000000939C: D89A5070 00004E19
	s_waitcnt lgkmcnt(0)                                       // 0000000093A4: BF8CC07F
	s_barrier                                                  // 0000000093A8: BF8A0000
	ds_read_b64 v[64:65], v24 offset:16896                     // 0000000093AC: D8EC4200 40000018
	ds_read_b64 v[66:67], v24 offset:17024                     // 0000000093B4: D8EC4280 42000018
	ds_read_b64 v[68:69], v24 offset:16928                     // 0000000093BC: D8EC4220 44000018
	ds_read_b64 v[70:71], v24 offset:17056                     // 0000000093C4: D8EC42A0 46000018
	ds_read_b64 v[72:73], v24 offset:16960                     // 0000000093CC: D8EC4240 48000018
	ds_read_b64 v[74:75], v24 offset:17088                     // 0000000093D4: D8EC42C0 4A000018
	ds_read_b64 v[76:77], v24 offset:16992                     // 0000000093DC: D8EC4260 4C000018
	ds_read_b64 v[78:79], v24 offset:17120                     // 0000000093E4: D8EC42E0 4E000018
	s_waitcnt lgkmcnt(0)                                       // 0000000093EC: BF8CC07F
	s_mov_b32 s70, s52                                         // 0000000093F0: BEC60034
	buffer_store_dwordx4 v[64:67], v5, s[36:39], 0 idxen       // 0000000093F4: E07C2000 80094005
	v_add_u32_e32 v5, s70, v5                                  // 0000000093FC: 680A0A46
	buffer_store_dwordx4 v[68:71], v5, s[36:39], 0 idxen       // 000000009400: E07C2000 80094405
	v_add_u32_e32 v5, s70, v5                                  // 000000009408: 680A0A46
	buffer_store_dwordx4 v[72:75], v5, s[36:39], 0 idxen       // 00000000940C: E07C2000 80094805
	v_add_u32_e32 v5, s70, v5                                  // 000000009414: 680A0A46
	buffer_store_dwordx4 v[76:79], v5, s[36:39], 0 idxen       // 000000009418: E07C2000 80094C05
	v_add_u32_e32 v5, s70, v5                                  // 000000009420: 680A0A46
	s_mul_i32 s60, 12, s70                                     // 000000009424: 923C468C
	v_add_u32_e32 v5, s60, v5                                  // 000000009428: 680A0A3C
	s_barrier                                                  // 00000000942C: BF8A0000
	s_cmp_ge_i32 2, s72                                        // 000000009430: BF034882
	s_cbranch_scc1 label_1657                                  // 000000009434: BF8500B5
	v_accvgpr_read_b32 v28, a224                               // 000000009438: D3D8401C 180001E0
	v_accvgpr_read_b32 v29, a225                               // 000000009440: D3D8401D 180001E1
	v_mul_f32_e32 v28, s47, v28                                // 000000009448: 0A38382F
	v_mul_f32_e32 v29, s47, v29                                // 00000000944C: 0A3A3A2F
	v_cvt_pkrtz_f16_f32 v80, v28, v29                          // 000000009450: D2960050 00023B1C
	v_accvgpr_read_b32 v28, a226                               // 000000009458: D3D8401C 180001E2
	v_accvgpr_read_b32 v29, a227                               // 000000009460: D3D8401D 180001E3
	v_mul_f32_e32 v28, s47, v28                                // 000000009468: 0A38382F
	v_mul_f32_e32 v29, s47, v29                                // 00000000946C: 0A3A3A2F
	v_cvt_pkrtz_f16_f32 v81, v28, v29                          // 000000009470: D2960051 00023B1C
	v_accvgpr_read_b32 v28, a228                               // 000000009478: D3D8401C 180001E4
	v_accvgpr_read_b32 v29, a229                               // 000000009480: D3D8401D 180001E5
	v_mul_f32_e32 v28, s47, v28                                // 000000009488: 0A38382F
	v_mul_f32_e32 v29, s47, v29                                // 00000000948C: 0A3A3A2F
	v_cvt_pkrtz_f16_f32 v82, v28, v29                          // 000000009490: D2960052 00023B1C
	v_accvgpr_read_b32 v28, a230                               // 000000009498: D3D8401C 180001E6
	v_accvgpr_read_b32 v29, a231                               // 0000000094A0: D3D8401D 180001E7
	v_mul_f32_e32 v28, s47, v28                                // 0000000094A8: 0A38382F
	v_mul_f32_e32 v29, s47, v29                                // 0000000094AC: 0A3A3A2F
	v_cvt_pkrtz_f16_f32 v83, v28, v29                          // 0000000094B0: D2960053 00023B1C
	v_accvgpr_read_b32 v28, a232                               // 0000000094B8: D3D8401C 180001E8
	v_accvgpr_read_b32 v29, a233                               // 0000000094C0: D3D8401D 180001E9
	v_mul_f32_e32 v28, s47, v28                                // 0000000094C8: 0A38382F
	v_mul_f32_e32 v29, s47, v29                                // 0000000094CC: 0A3A3A2F
	v_cvt_pkrtz_f16_f32 v84, v28, v29                          // 0000000094D0: D2960054 00023B1C
	v_accvgpr_read_b32 v28, a234                               // 0000000094D8: D3D8401C 180001EA
	v_accvgpr_read_b32 v29, a235                               // 0000000094E0: D3D8401D 180001EB
	v_mul_f32_e32 v28, s47, v28                                // 0000000094E8: 0A38382F
	v_mul_f32_e32 v29, s47, v29                                // 0000000094EC: 0A3A3A2F
	v_cvt_pkrtz_f16_f32 v85, v28, v29                          // 0000000094F0: D2960055 00023B1C
	v_accvgpr_read_b32 v28, a236                               // 0000000094F8: D3D8401C 180001EC
	v_accvgpr_read_b32 v29, a237                               // 000000009500: D3D8401D 180001ED
	v_mul_f32_e32 v28, s47, v28                                // 000000009508: 0A38382F
	v_mul_f32_e32 v29, s47, v29                                // 00000000950C: 0A3A3A2F
	v_cvt_pkrtz_f16_f32 v86, v28, v29                          // 000000009510: D2960056 00023B1C
	v_accvgpr_read_b32 v28, a238                               // 000000009518: D3D8401C 180001EE
	v_accvgpr_read_b32 v29, a239                               // 000000009520: D3D8401D 180001EF
	v_mul_f32_e32 v28, s47, v28                                // 000000009528: 0A38382F
	v_mul_f32_e32 v29, s47, v29                                // 00000000952C: 0A3A3A2F
	v_cvt_pkrtz_f16_f32 v87, v28, v29                          // 000000009530: D2960057 00023B1C
	v_accvgpr_read_b32 v28, a240                               // 000000009538: D3D8401C 180001F0
	v_accvgpr_read_b32 v29, a241                               // 000000009540: D3D8401D 180001F1
	v_mul_f32_e32 v28, s47, v28                                // 000000009548: 0A38382F
	v_mul_f32_e32 v29, s47, v29                                // 00000000954C: 0A3A3A2F
	v_cvt_pkrtz_f16_f32 v88, v28, v29                          // 000000009550: D2960058 00023B1C
	v_accvgpr_read_b32 v28, a242                               // 000000009558: D3D8401C 180001F2
	v_accvgpr_read_b32 v29, a243                               // 000000009560: D3D8401D 180001F3
	v_mul_f32_e32 v28, s47, v28                                // 000000009568: 0A38382F
	v_mul_f32_e32 v29, s47, v29                                // 00000000956C: 0A3A3A2F
	v_cvt_pkrtz_f16_f32 v89, v28, v29                          // 000000009570: D2960059 00023B1C
	v_accvgpr_read_b32 v28, a244                               // 000000009578: D3D8401C 180001F4
	v_accvgpr_read_b32 v29, a245                               // 000000009580: D3D8401D 180001F5
	v_mul_f32_e32 v28, s47, v28                                // 000000009588: 0A38382F
	v_mul_f32_e32 v29, s47, v29                                // 00000000958C: 0A3A3A2F
	v_cvt_pkrtz_f16_f32 v90, v28, v29                          // 000000009590: D296005A 00023B1C
	v_accvgpr_read_b32 v28, a246                               // 000000009598: D3D8401C 180001F6
	v_accvgpr_read_b32 v29, a247                               // 0000000095A0: D3D8401D 180001F7
	v_mul_f32_e32 v28, s47, v28                                // 0000000095A8: 0A38382F
	v_mul_f32_e32 v29, s47, v29                                // 0000000095AC: 0A3A3A2F
	v_cvt_pkrtz_f16_f32 v91, v28, v29                          // 0000000095B0: D296005B 00023B1C
	v_accvgpr_read_b32 v28, a248                               // 0000000095B8: D3D8401C 180001F8
	v_accvgpr_read_b32 v29, a249                               // 0000000095C0: D3D8401D 180001F9
	v_mul_f32_e32 v28, s47, v28                                // 0000000095C8: 0A38382F
	v_mul_f32_e32 v29, s47, v29                                // 0000000095CC: 0A3A3A2F
	v_cvt_pkrtz_f16_f32 v92, v28, v29                          // 0000000095D0: D296005C 00023B1C
	v_accvgpr_read_b32 v28, a250                               // 0000000095D8: D3D8401C 180001FA
	v_accvgpr_read_b32 v29, a251                               // 0000000095E0: D3D8401D 180001FB
	v_mul_f32_e32 v28, s47, v28                                // 0000000095E8: 0A38382F
	v_mul_f32_e32 v29, s47, v29                                // 0000000095EC: 0A3A3A2F
	v_cvt_pkrtz_f16_f32 v93, v28, v29                          // 0000000095F0: D296005D 00023B1C
	v_accvgpr_read_b32 v28, a252                               // 0000000095F8: D3D8401C 180001FC
	v_accvgpr_read_b32 v29, a253                               // 000000009600: D3D8401D 180001FD
	v_mul_f32_e32 v28, s47, v28                                // 000000009608: 0A38382F
	v_mul_f32_e32 v29, s47, v29                                // 00000000960C: 0A3A3A2F
	v_cvt_pkrtz_f16_f32 v94, v28, v29                          // 000000009610: D296005E 00023B1C
	v_accvgpr_read_b32 v28, a254                               // 000000009618: D3D8401C 180001FE
	v_accvgpr_read_b32 v29, a255                               // 000000009620: D3D8401D 180001FF
	v_mul_f32_e32 v28, s47, v28                                // 000000009628: 0A38382F
	v_mul_f32_e32 v29, s47, v29                                // 00000000962C: 0A3A3A2F
	v_cvt_pkrtz_f16_f32 v95, v28, v29                          // 000000009630: D296005F 00023B1C
	ds_write_b64 v25, v[80:81] offset:33792                    // 000000009638: D89A8400 00005019
	ds_write_b64 v25, v[82:83] offset:34320                    // 000000009640: D89A8610 00005219
	ds_write_b64 v25, v[84:85] offset:34848                    // 000000009648: D89A8820 00005419
	ds_write_b64 v25, v[86:87] offset:35376                    // 000000009650: D89A8A30 00005619
	ds_write_b64 v25, v[88:89] offset:35904                    // 000000009658: D89A8C40 00005819
	ds_write_b64 v25, v[90:91] offset:36432                    // 000000009660: D89A8E50 00005A19
	ds_write_b64 v25, v[92:93] offset:36960                    // 000000009668: D89A9060 00005C19
	ds_write_b64 v25, v[94:95] offset:37488                    // 000000009670: D89A9270 00005E19
	s_waitcnt lgkmcnt(0)                                       // 000000009678: BF8CC07F
	s_barrier                                                  // 00000000967C: BF8A0000
	ds_read_b64 v[80:81], v24 offset:33792                     // 000000009680: D8EC8400 50000018
	ds_read_b64 v[82:83], v24 offset:33920                     // 000000009688: D8EC8480 52000018
	ds_read_b64 v[84:85], v24 offset:33824                     // 000000009690: D8EC8420 54000018
	ds_read_b64 v[86:87], v24 offset:33952                     // 000000009698: D8EC84A0 56000018
	ds_read_b64 v[88:89], v24 offset:33856                     // 0000000096A0: D8EC8440 58000018
	ds_read_b64 v[90:91], v24 offset:33984                     // 0000000096A8: D8EC84C0 5A000018
	ds_read_b64 v[92:93], v24 offset:33888                     // 0000000096B0: D8EC8460 5C000018
	ds_read_b64 v[94:95], v24 offset:34016                     // 0000000096B8: D8EC84E0 5E000018
	s_waitcnt lgkmcnt(0)                                       // 0000000096C0: BF8CC07F
	s_mov_b32 s70, s52                                         // 0000000096C4: BEC60034
	buffer_store_dwordx4 v[80:83], v5, s[36:39], 0 idxen       // 0000000096C8: E07C2000 80095005
	v_add_u32_e32 v5, s70, v5                                  // 0000000096D0: 680A0A46
	buffer_store_dwordx4 v[84:87], v5, s[36:39], 0 idxen       // 0000000096D4: E07C2000 80095405
	v_add_u32_e32 v5, s70, v5                                  // 0000000096DC: 680A0A46
	buffer_store_dwordx4 v[88:91], v5, s[36:39], 0 idxen       // 0000000096E0: E07C2000 80095805
	v_add_u32_e32 v5, s70, v5                                  // 0000000096E8: 680A0A46
	buffer_store_dwordx4 v[92:95], v5, s[36:39], 0 idxen       // 0000000096EC: E07C2000 80095C05
	v_add_u32_e32 v5, s70, v5                                  // 0000000096F4: 680A0A46
	s_mul_i32 s60, 12, s70                                     // 0000000096F8: 923C468C
	v_add_u32_e32 v5, s60, v5                                  // 0000000096FC: 680A0A3C
	s_barrier                                                  // 000000009700: BF8A0000
	s_cmp_ge_i32 3, s72                                        // 000000009704: BF034883
	s_cbranch_scc1 label_1657                                  // 000000009708: BF850000

000000000000970c <label_1657>:
	v_mov_b32_e32 v28, v152                                    // 00000000970C: 7E380398
	v_mov_b32_e32 v29, v153                                    // 000000009710: 7E3A0399
	v_cvt_pkrtz_f16_f32 v152, v28, v29                         // 000000009714: D2960098 00023B1C
	v_mov_b32_e32 v28, v154                                    // 00000000971C: 7E38039A
	v_mov_b32_e32 v29, v155                                    // 000000009720: 7E3A039B
	v_cvt_pkrtz_f16_f32 v153, v28, v29                         // 000000009724: D2960099 00023B1C
	v_mov_b32_e32 v28, v156                                    // 00000000972C: 7E38039C
	v_mov_b32_e32 v29, v157                                    // 000000009730: 7E3A039D
	v_cvt_pkrtz_f16_f32 v154, v28, v29                         // 000000009734: D296009A 00023B1C
	v_mov_b32_e32 v28, v158                                    // 00000000973C: 7E38039E
	v_mov_b32_e32 v29, v159                                    // 000000009740: 7E3A039F
	v_cvt_pkrtz_f16_f32 v155, v28, v29                         // 000000009744: D296009B 00023B1C
	v_mov_b32_e32 v28, v160                                    // 00000000974C: 7E3803A0
	v_mov_b32_e32 v29, v161                                    // 000000009750: 7E3A03A1
	v_cvt_pkrtz_f16_f32 v156, v28, v29                         // 000000009754: D296009C 00023B1C
	v_mov_b32_e32 v28, v162                                    // 00000000975C: 7E3803A2
	v_mov_b32_e32 v29, v163                                    // 000000009760: 7E3A03A3
	v_cvt_pkrtz_f16_f32 v157, v28, v29                         // 000000009764: D296009D 00023B1C
	v_mov_b32_e32 v28, v164                                    // 00000000976C: 7E3803A4
	v_mov_b32_e32 v29, v165                                    // 000000009770: 7E3A03A5
	v_cvt_pkrtz_f16_f32 v158, v28, v29                         // 000000009774: D296009E 00023B1C
	v_mov_b32_e32 v28, v166                                    // 00000000977C: 7E3803A6
	v_mov_b32_e32 v29, v167                                    // 000000009780: 7E3A03A7
	v_cvt_pkrtz_f16_f32 v159, v28, v29                         // 000000009784: D296009F 00023B1C
	v_mov_b32_e32 v28, v168                                    // 00000000978C: 7E3803A8
	v_mov_b32_e32 v29, v169                                    // 000000009790: 7E3A03A9
	v_cvt_pkrtz_f16_f32 v160, v28, v29                         // 000000009794: D29600A0 00023B1C
	v_mov_b32_e32 v28, v170                                    // 00000000979C: 7E3803AA
	v_mov_b32_e32 v29, v171                                    // 0000000097A0: 7E3A03AB
	v_cvt_pkrtz_f16_f32 v161, v28, v29                         // 0000000097A4: D29600A1 00023B1C
	v_mov_b32_e32 v28, v172                                    // 0000000097AC: 7E3803AC
	v_mov_b32_e32 v29, v173                                    // 0000000097B0: 7E3A03AD
	v_cvt_pkrtz_f16_f32 v162, v28, v29                         // 0000000097B4: D29600A2 00023B1C
	v_mov_b32_e32 v28, v174                                    // 0000000097BC: 7E3803AE
	v_mov_b32_e32 v29, v175                                    // 0000000097C0: 7E3A03AF
	v_cvt_pkrtz_f16_f32 v163, v28, v29                         // 0000000097C4: D29600A3 00023B1C
	v_mov_b32_e32 v28, v176                                    // 0000000097CC: 7E3803B0
	v_mov_b32_e32 v29, v177                                    // 0000000097D0: 7E3A03B1
	v_cvt_pkrtz_f16_f32 v164, v28, v29                         // 0000000097D4: D29600A4 00023B1C
	v_mov_b32_e32 v28, v178                                    // 0000000097DC: 7E3803B2
	v_mov_b32_e32 v29, v179                                    // 0000000097E0: 7E3A03B3
	v_cvt_pkrtz_f16_f32 v165, v28, v29                         // 0000000097E4: D29600A5 00023B1C
	v_mov_b32_e32 v28, v180                                    // 0000000097EC: 7E3803B4
	v_mov_b32_e32 v29, v181                                    // 0000000097F0: 7E3A03B5
	v_cvt_pkrtz_f16_f32 v166, v28, v29                         // 0000000097F4: D29600A6 00023B1C
	v_mov_b32_e32 v28, v182                                    // 0000000097FC: 7E3803B6
	v_mov_b32_e32 v29, v183                                    // 000000009800: 7E3A03B7
	v_cvt_pkrtz_f16_f32 v167, v28, v29                         // 000000009804: D29600A7 00023B1C
	ds_write_b64 v25, v[152:153]                               // 00000000980C: D89A0000 00009819
	ds_write_b64 v25, v[154:155] offset:528                    // 000000009814: D89A0210 00009A19
	ds_write_b64 v25, v[156:157] offset:1056                   // 00000000981C: D89A0420 00009C19
	ds_write_b64 v25, v[158:159] offset:1584                   // 000000009824: D89A0630 00009E19
	ds_write_b64 v25, v[160:161] offset:2112                   // 00000000982C: D89A0840 0000A019
	ds_write_b64 v25, v[162:163] offset:2640                   // 000000009834: D89A0A50 0000A219
	ds_write_b64 v25, v[164:165] offset:3168                   // 00000000983C: D89A0C60 0000A419
	ds_write_b64 v25, v[166:167] offset:3696                   // 000000009844: D89A0E70 0000A619
	s_waitcnt lgkmcnt(0)                                       // 00000000984C: BF8CC07F
	s_barrier                                                  // 000000009850: BF8A0000
	ds_read_b64 v[152:153], v24                                // 000000009854: D8EC0000 98000018
	ds_read_b64 v[154:155], v24 offset:128                     // 00000000985C: D8EC0080 9A000018
	ds_read_b64 v[156:157], v24 offset:32                      // 000000009864: D8EC0020 9C000018
	ds_read_b64 v[158:159], v24 offset:160                     // 00000000986C: D8EC00A0 9E000018
	ds_read_b64 v[160:161], v24 offset:64                      // 000000009874: D8EC0040 A0000018
	ds_read_b64 v[162:163], v24 offset:192                     // 00000000987C: D8EC00C0 A2000018
	ds_read_b64 v[164:165], v24 offset:96                      // 000000009884: D8EC0060 A4000018
	ds_read_b64 v[166:167], v24 offset:224                     // 00000000988C: D8EC00E0 A6000018
	s_waitcnt lgkmcnt(0)                                       // 000000009894: BF8CC07F
	s_mov_b32 s70, s53                                         // 000000009898: BEC60035
	buffer_store_dwordx4 v[152:155], v6, s[40:43], 0 idxen     // 00000000989C: E07C2000 800A9806
	v_add_u32_e32 v6, s70, v6                                  // 0000000098A4: 680C0C46
	buffer_store_dwordx4 v[156:159], v6, s[40:43], 0 idxen     // 0000000098A8: E07C2000 800A9C06
	v_add_u32_e32 v6, s70, v6                                  // 0000000098B0: 680C0C46
	buffer_store_dwordx4 v[160:163], v6, s[40:43], 0 idxen     // 0000000098B4: E07C2000 800AA006
	v_add_u32_e32 v6, s70, v6                                  // 0000000098BC: 680C0C46
	buffer_store_dwordx4 v[164:167], v6, s[40:43], 0 idxen     // 0000000098C0: E07C2000 800AA406
	v_add_u32_e32 v6, s70, v6                                  // 0000000098C8: 680C0C46
	s_mul_i32 s60, 12, s70                                     // 0000000098CC: 923C468C
	v_add_u32_e32 v6, s60, v6                                  // 0000000098D0: 680C0C3C
	s_cmp_ge_i32 1, s72                                        // 0000000098D4: BF034881
	s_cbranch_scc1 label_17B3                                  // 0000000098D8: BF8500E8
	v_mov_b32_e32 v28, v184                                    // 0000000098DC: 7E3803B8
	v_mov_b32_e32 v29, v185                                    // 0000000098E0: 7E3A03B9
	v_cvt_pkrtz_f16_f32 v168, v28, v29                         // 0000000098E4: D29600A8 00023B1C
	v_mov_b32_e32 v28, v186                                    // 0000000098EC: 7E3803BA
	v_mov_b32_e32 v29, v187                                    // 0000000098F0: 7E3A03BB
	v_cvt_pkrtz_f16_f32 v169, v28, v29                         // 0000000098F4: D29600A9 00023B1C
	v_mov_b32_e32 v28, v188                                    // 0000000098FC: 7E3803BC
	v_mov_b32_e32 v29, v189                                    // 000000009900: 7E3A03BD
	v_cvt_pkrtz_f16_f32 v170, v28, v29                         // 000000009904: D29600AA 00023B1C
	v_mov_b32_e32 v28, v190                                    // 00000000990C: 7E3803BE
	v_mov_b32_e32 v29, v191                                    // 000000009910: 7E3A03BF
	v_cvt_pkrtz_f16_f32 v171, v28, v29                         // 000000009914: D29600AB 00023B1C
	v_mov_b32_e32 v28, v192                                    // 00000000991C: 7E3803C0
	v_mov_b32_e32 v29, v193                                    // 000000009920: 7E3A03C1
	v_cvt_pkrtz_f16_f32 v172, v28, v29                         // 000000009924: D29600AC 00023B1C
	v_mov_b32_e32 v28, v194                                    // 00000000992C: 7E3803C2
	v_mov_b32_e32 v29, v195                                    // 000000009930: 7E3A03C3
	v_cvt_pkrtz_f16_f32 v173, v28, v29                         // 000000009934: D29600AD 00023B1C
	v_mov_b32_e32 v28, v196                                    // 00000000993C: 7E3803C4
	v_mov_b32_e32 v29, v197                                    // 000000009940: 7E3A03C5
	v_cvt_pkrtz_f16_f32 v174, v28, v29                         // 000000009944: D29600AE 00023B1C
	v_mov_b32_e32 v28, v198                                    // 00000000994C: 7E3803C6
	v_mov_b32_e32 v29, v199                                    // 000000009950: 7E3A03C7
	v_cvt_pkrtz_f16_f32 v175, v28, v29                         // 000000009954: D29600AF 00023B1C
	v_mov_b32_e32 v28, v200                                    // 00000000995C: 7E3803C8
	v_mov_b32_e32 v29, v201                                    // 000000009960: 7E3A03C9
	v_cvt_pkrtz_f16_f32 v176, v28, v29                         // 000000009964: D29600B0 00023B1C
	v_mov_b32_e32 v28, v202                                    // 00000000996C: 7E3803CA
	v_mov_b32_e32 v29, v203                                    // 000000009970: 7E3A03CB
	v_cvt_pkrtz_f16_f32 v177, v28, v29                         // 000000009974: D29600B1 00023B1C
	v_mov_b32_e32 v28, v204                                    // 00000000997C: 7E3803CC
	v_mov_b32_e32 v29, v205                                    // 000000009980: 7E3A03CD
	v_cvt_pkrtz_f16_f32 v178, v28, v29                         // 000000009984: D29600B2 00023B1C
	v_mov_b32_e32 v28, v206                                    // 00000000998C: 7E3803CE
	v_mov_b32_e32 v29, v207                                    // 000000009990: 7E3A03CF
	v_cvt_pkrtz_f16_f32 v179, v28, v29                         // 000000009994: D29600B3 00023B1C
	v_mov_b32_e32 v28, v208                                    // 00000000999C: 7E3803D0
	v_mov_b32_e32 v29, v209                                    // 0000000099A0: 7E3A03D1
	v_cvt_pkrtz_f16_f32 v180, v28, v29                         // 0000000099A4: D29600B4 00023B1C
	v_mov_b32_e32 v28, v210                                    // 0000000099AC: 7E3803D2
	v_mov_b32_e32 v29, v211                                    // 0000000099B0: 7E3A03D3
	v_cvt_pkrtz_f16_f32 v181, v28, v29                         // 0000000099B4: D29600B5 00023B1C
	v_mov_b32_e32 v28, v212                                    // 0000000099BC: 7E3803D4
	v_mov_b32_e32 v29, v213                                    // 0000000099C0: 7E3A03D5
	v_cvt_pkrtz_f16_f32 v182, v28, v29                         // 0000000099C4: D29600B6 00023B1C
	v_mov_b32_e32 v28, v214                                    // 0000000099CC: 7E3803D6
	v_mov_b32_e32 v29, v215                                    // 0000000099D0: 7E3A03D7
	v_cvt_pkrtz_f16_f32 v183, v28, v29                         // 0000000099D4: D29600B7 00023B1C
	ds_write_b64 v25, v[168:169] offset:16896                  // 0000000099DC: D89A4200 0000A819
	ds_write_b64 v25, v[170:171] offset:17424                  // 0000000099E4: D89A4410 0000AA19
	ds_write_b64 v25, v[172:173] offset:17952                  // 0000000099EC: D89A4620 0000AC19
	ds_write_b64 v25, v[174:175] offset:18480                  // 0000000099F4: D89A4830 0000AE19
	ds_write_b64 v25, v[176:177] offset:19008                  // 0000000099FC: D89A4A40 0000B019
	ds_write_b64 v25, v[178:179] offset:19536                  // 000000009A04: D89A4C50 0000B219
	ds_write_b64 v25, v[180:181] offset:20064                  // 000000009A0C: D89A4E60 0000B419
	ds_write_b64 v25, v[182:183] offset:20592                  // 000000009A14: D89A5070 0000B619
	s_waitcnt lgkmcnt(0)                                       // 000000009A1C: BF8CC07F
	s_barrier                                                  // 000000009A20: BF8A0000
	ds_read_b64 v[168:169], v24 offset:16896                   // 000000009A24: D8EC4200 A8000018
	ds_read_b64 v[170:171], v24 offset:17024                   // 000000009A2C: D8EC4280 AA000018
	ds_read_b64 v[172:173], v24 offset:16928                   // 000000009A34: D8EC4220 AC000018
	ds_read_b64 v[174:175], v24 offset:17056                   // 000000009A3C: D8EC42A0 AE000018
	ds_read_b64 v[176:177], v24 offset:16960                   // 000000009A44: D8EC4240 B0000018
	ds_read_b64 v[178:179], v24 offset:17088                   // 000000009A4C: D8EC42C0 B2000018
	ds_read_b64 v[180:181], v24 offset:16992                   // 000000009A54: D8EC4260 B4000018
	ds_read_b64 v[182:183], v24 offset:17120                   // 000000009A5C: D8EC42E0 B6000018
	s_waitcnt lgkmcnt(0)                                       // 000000009A64: BF8CC07F
	s_mov_b32 s70, s53                                         // 000000009A68: BEC60035
	buffer_store_dwordx4 v[168:171], v6, s[40:43], 0 idxen     // 000000009A6C: E07C2000 800AA806
	v_add_u32_e32 v6, s70, v6                                  // 000000009A74: 680C0C46
	buffer_store_dwordx4 v[172:175], v6, s[40:43], 0 idxen     // 000000009A78: E07C2000 800AAC06
	v_add_u32_e32 v6, s70, v6                                  // 000000009A80: 680C0C46
	buffer_store_dwordx4 v[176:179], v6, s[40:43], 0 idxen     // 000000009A84: E07C2000 800AB006
	v_add_u32_e32 v6, s70, v6                                  // 000000009A8C: 680C0C46
	buffer_store_dwordx4 v[180:183], v6, s[40:43], 0 idxen     // 000000009A90: E07C2000 800AB406
	v_add_u32_e32 v6, s70, v6                                  // 000000009A98: 680C0C46
	s_mul_i32 s60, 12, s70                                     // 000000009A9C: 923C468C
	v_add_u32_e32 v6, s60, v6                                  // 000000009AA0: 680C0C3C
	s_cmp_ge_i32 2, s72                                        // 000000009AA4: BF034882
	s_cbranch_scc1 label_17B3                                  // 000000009AA8: BF850074
	v_mov_b32_e32 v28, v216                                    // 000000009AAC: 7E3803D8
	v_mov_b32_e32 v29, v217                                    // 000000009AB0: 7E3A03D9
	v_cvt_pkrtz_f16_f32 v184, v28, v29                         // 000000009AB4: D29600B8 00023B1C
	v_mov_b32_e32 v28, v218                                    // 000000009ABC: 7E3803DA
	v_mov_b32_e32 v29, v219                                    // 000000009AC0: 7E3A03DB
	v_cvt_pkrtz_f16_f32 v185, v28, v29                         // 000000009AC4: D29600B9 00023B1C
	v_mov_b32_e32 v28, v220                                    // 000000009ACC: 7E3803DC
	v_mov_b32_e32 v29, v221                                    // 000000009AD0: 7E3A03DD
	v_cvt_pkrtz_f16_f32 v186, v28, v29                         // 000000009AD4: D29600BA 00023B1C
	v_mov_b32_e32 v28, v222                                    // 000000009ADC: 7E3803DE
	v_mov_b32_e32 v29, v223                                    // 000000009AE0: 7E3A03DF
	v_cvt_pkrtz_f16_f32 v187, v28, v29                         // 000000009AE4: D29600BB 00023B1C
	v_mov_b32_e32 v28, v224                                    // 000000009AEC: 7E3803E0
	v_mov_b32_e32 v29, v225                                    // 000000009AF0: 7E3A03E1
	v_cvt_pkrtz_f16_f32 v188, v28, v29                         // 000000009AF4: D29600BC 00023B1C
	v_mov_b32_e32 v28, v226                                    // 000000009AFC: 7E3803E2
	v_mov_b32_e32 v29, v227                                    // 000000009B00: 7E3A03E3
	v_cvt_pkrtz_f16_f32 v189, v28, v29                         // 000000009B04: D29600BD 00023B1C
	v_mov_b32_e32 v28, v228                                    // 000000009B0C: 7E3803E4
	v_mov_b32_e32 v29, v229                                    // 000000009B10: 7E3A03E5
	v_cvt_pkrtz_f16_f32 v190, v28, v29                         // 000000009B14: D29600BE 00023B1C
	v_mov_b32_e32 v28, v230                                    // 000000009B1C: 7E3803E6
	v_mov_b32_e32 v29, v231                                    // 000000009B20: 7E3A03E7
	v_cvt_pkrtz_f16_f32 v191, v28, v29                         // 000000009B24: D29600BF 00023B1C
	v_mov_b32_e32 v28, v232                                    // 000000009B2C: 7E3803E8
	v_mov_b32_e32 v29, v233                                    // 000000009B30: 7E3A03E9
	v_cvt_pkrtz_f16_f32 v192, v28, v29                         // 000000009B34: D29600C0 00023B1C
	v_mov_b32_e32 v28, v234                                    // 000000009B3C: 7E3803EA
	v_mov_b32_e32 v29, v235                                    // 000000009B40: 7E3A03EB
	v_cvt_pkrtz_f16_f32 v193, v28, v29                         // 000000009B44: D29600C1 00023B1C
	v_mov_b32_e32 v28, v236                                    // 000000009B4C: 7E3803EC
	v_mov_b32_e32 v29, v237                                    // 000000009B50: 7E3A03ED
	v_cvt_pkrtz_f16_f32 v194, v28, v29                         // 000000009B54: D29600C2 00023B1C
	v_mov_b32_e32 v28, v238                                    // 000000009B5C: 7E3803EE
	v_mov_b32_e32 v29, v239                                    // 000000009B60: 7E3A03EF
	v_cvt_pkrtz_f16_f32 v195, v28, v29                         // 000000009B64: D29600C3 00023B1C
	v_mov_b32_e32 v28, v240                                    // 000000009B6C: 7E3803F0
	v_mov_b32_e32 v29, v241                                    // 000000009B70: 7E3A03F1
	v_cvt_pkrtz_f16_f32 v196, v28, v29                         // 000000009B74: D29600C4 00023B1C
	v_mov_b32_e32 v28, v242                                    // 000000009B7C: 7E3803F2
	v_mov_b32_e32 v29, v243                                    // 000000009B80: 7E3A03F3
	v_cvt_pkrtz_f16_f32 v197, v28, v29                         // 000000009B84: D29600C5 00023B1C
	v_mov_b32_e32 v28, v244                                    // 000000009B8C: 7E3803F4
	v_mov_b32_e32 v29, v245                                    // 000000009B90: 7E3A03F5
	v_cvt_pkrtz_f16_f32 v198, v28, v29                         // 000000009B94: D29600C6 00023B1C
	v_mov_b32_e32 v28, v246                                    // 000000009B9C: 7E3803F6
	v_mov_b32_e32 v29, v247                                    // 000000009BA0: 7E3A03F7
	v_cvt_pkrtz_f16_f32 v199, v28, v29                         // 000000009BA4: D29600C7 00023B1C
	ds_write_b64 v25, v[184:185] offset:33792                  // 000000009BAC: D89A8400 0000B819
	ds_write_b64 v25, v[186:187] offset:34320                  // 000000009BB4: D89A8610 0000BA19
	ds_write_b64 v25, v[188:189] offset:34848                  // 000000009BBC: D89A8820 0000BC19
	ds_write_b64 v25, v[190:191] offset:35376                  // 000000009BC4: D89A8A30 0000BE19
	ds_write_b64 v25, v[192:193] offset:35904                  // 000000009BCC: D89A8C40 0000C019
	ds_write_b64 v25, v[194:195] offset:36432                  // 000000009BD4: D89A8E50 0000C219
	ds_write_b64 v25, v[196:197] offset:36960                  // 000000009BDC: D89A9060 0000C419
	ds_write_b64 v25, v[198:199] offset:37488                  // 000000009BE4: D89A9270 0000C619
	s_waitcnt lgkmcnt(0)                                       // 000000009BEC: BF8CC07F
	s_barrier                                                  // 000000009BF0: BF8A0000
	ds_read_b64 v[184:185], v24 offset:33792                   // 000000009BF4: D8EC8400 B8000018
	ds_read_b64 v[186:187], v24 offset:33920                   // 000000009BFC: D8EC8480 BA000018
	ds_read_b64 v[188:189], v24 offset:33824                   // 000000009C04: D8EC8420 BC000018
	ds_read_b64 v[190:191], v24 offset:33952                   // 000000009C0C: D8EC84A0 BE000018
	ds_read_b64 v[192:193], v24 offset:33856                   // 000000009C14: D8EC8440 C0000018
	ds_read_b64 v[194:195], v24 offset:33984                   // 000000009C1C: D8EC84C0 C2000018
	ds_read_b64 v[196:197], v24 offset:33888                   // 000000009C24: D8EC8460 C4000018
	ds_read_b64 v[198:199], v24 offset:34016                   // 000000009C2C: D8EC84E0 C6000018
	s_waitcnt lgkmcnt(0)                                       // 000000009C34: BF8CC07F
	s_mov_b32 s70, s53                                         // 000000009C38: BEC60035
	buffer_store_dwordx4 v[184:187], v6, s[40:43], 0 idxen     // 000000009C3C: E07C2000 800AB806
	v_add_u32_e32 v6, s70, v6                                  // 000000009C44: 680C0C46
	buffer_store_dwordx4 v[188:191], v6, s[40:43], 0 idxen     // 000000009C48: E07C2000 800ABC06
	v_add_u32_e32 v6, s70, v6                                  // 000000009C50: 680C0C46
	buffer_store_dwordx4 v[192:195], v6, s[40:43], 0 idxen     // 000000009C54: E07C2000 800AC006
	v_add_u32_e32 v6, s70, v6                                  // 000000009C5C: 680C0C46
	buffer_store_dwordx4 v[196:199], v6, s[40:43], 0 idxen     // 000000009C60: E07C2000 800AC406
	v_add_u32_e32 v6, s70, v6                                  // 000000009C68: 680C0C46
	s_mul_i32 s60, 12, s70                                     // 000000009C6C: 923C468C
	v_add_u32_e32 v6, s60, v6                                  // 000000009C70: 680C0C3C
	s_cmp_ge_i32 3, s72                                        // 000000009C74: BF034883
	s_cbranch_scc1 label_17B3                                  // 000000009C78: BF850000

0000000000009c7c <label_17B3>:
	s_waitcnt vmcnt(0) expcnt(0) lgkmcnt(0)                    // 000000009C7C: BF8C0000
	s_sub_i32 s60, s77, 1                                      // 000000009C80: 81BC814D
	s_sub_i32 s2, s60, s2                                      // 000000009C84: 8182023C
	s_addk_i32 s75, 0x1                                        // 000000009C88: B74B0001
	s_cmp_lt_i32 s75, s76                                      // 000000009C8C: BF044C4B
	s_cbranch_scc1 label_015D                                  // 000000009C90: BF85E9B8

0000000000009c94 <label_17B9>:
	s_waitcnt vmcnt(0) expcnt(0) lgkmcnt(0)                    // 000000009C94: BF8C0000
	s_endpgm                                                   // 000000009C98: BF810000
